;; amdgpu-corpus repo=ROCm/rocFFT kind=compiled arch=gfx1201 opt=O3
	.text
	.amdgcn_target "amdgcn-amd-amdhsa--gfx1201"
	.amdhsa_code_object_version 6
	.protected	fft_rtc_fwd_len1512_factors_2_2_2_3_3_3_7_wgs_63_tpt_63_halfLds_sp_ip_CI_unitstride_sbrr_dirReg ; -- Begin function fft_rtc_fwd_len1512_factors_2_2_2_3_3_3_7_wgs_63_tpt_63_halfLds_sp_ip_CI_unitstride_sbrr_dirReg
	.globl	fft_rtc_fwd_len1512_factors_2_2_2_3_3_3_7_wgs_63_tpt_63_halfLds_sp_ip_CI_unitstride_sbrr_dirReg
	.p2align	8
	.type	fft_rtc_fwd_len1512_factors_2_2_2_3_3_3_7_wgs_63_tpt_63_halfLds_sp_ip_CI_unitstride_sbrr_dirReg,@function
fft_rtc_fwd_len1512_factors_2_2_2_3_3_3_7_wgs_63_tpt_63_halfLds_sp_ip_CI_unitstride_sbrr_dirReg: ; @fft_rtc_fwd_len1512_factors_2_2_2_3_3_3_7_wgs_63_tpt_63_halfLds_sp_ip_CI_unitstride_sbrr_dirReg
; %bb.0:
	s_clause 0x2
	s_load_b128 s[4:7], s[0:1], 0x0
	s_load_b64 s[8:9], s[0:1], 0x50
	s_load_b64 s[10:11], s[0:1], 0x18
	v_mul_u32_u24_e32 v1, 0x411, v0
	v_mov_b32_e32 v3, 0
	s_delay_alu instid0(VALU_DEP_2) | instskip(NEXT) | instid1(VALU_DEP_1)
	v_lshrrev_b32_e32 v1, 16, v1
	v_add_nc_u32_e32 v5, ttmp9, v1
	v_mov_b32_e32 v1, 0
	v_mov_b32_e32 v2, 0
	;; [unrolled: 1-line block ×3, first 2 shown]
	s_wait_kmcnt 0x0
	v_cmp_lt_u64_e64 s2, s[6:7], 2
	s_delay_alu instid0(VALU_DEP_1)
	s_and_b32 vcc_lo, exec_lo, s2
	s_cbranch_vccnz .LBB0_8
; %bb.1:
	s_load_b64 s[2:3], s[0:1], 0x10
	v_mov_b32_e32 v1, 0
	v_mov_b32_e32 v2, 0
	s_add_nc_u64 s[12:13], s[10:11], 8
	s_mov_b64 s[14:15], 1
	s_wait_kmcnt 0x0
	s_add_nc_u64 s[16:17], s[2:3], 8
	s_mov_b32 s3, 0
.LBB0_2:                                ; =>This Inner Loop Header: Depth=1
	s_load_b64 s[18:19], s[16:17], 0x0
                                        ; implicit-def: $vgpr23_vgpr24
	s_mov_b32 s2, exec_lo
	s_wait_kmcnt 0x0
	v_or_b32_e32 v4, s19, v6
	s_delay_alu instid0(VALU_DEP_1)
	v_cmpx_ne_u64_e32 0, v[3:4]
	s_wait_alu 0xfffe
	s_xor_b32 s20, exec_lo, s2
	s_cbranch_execz .LBB0_4
; %bb.3:                                ;   in Loop: Header=BB0_2 Depth=1
	s_cvt_f32_u32 s2, s18
	s_cvt_f32_u32 s21, s19
	s_sub_nc_u64 s[24:25], 0, s[18:19]
	s_wait_alu 0xfffe
	s_delay_alu instid0(SALU_CYCLE_1) | instskip(SKIP_1) | instid1(SALU_CYCLE_2)
	s_fmamk_f32 s2, s21, 0x4f800000, s2
	s_wait_alu 0xfffe
	v_s_rcp_f32 s2, s2
	s_delay_alu instid0(TRANS32_DEP_1) | instskip(SKIP_1) | instid1(SALU_CYCLE_2)
	s_mul_f32 s2, s2, 0x5f7ffffc
	s_wait_alu 0xfffe
	s_mul_f32 s21, s2, 0x2f800000
	s_wait_alu 0xfffe
	s_delay_alu instid0(SALU_CYCLE_2) | instskip(SKIP_1) | instid1(SALU_CYCLE_2)
	s_trunc_f32 s21, s21
	s_wait_alu 0xfffe
	s_fmamk_f32 s2, s21, 0xcf800000, s2
	s_cvt_u32_f32 s23, s21
	s_wait_alu 0xfffe
	s_delay_alu instid0(SALU_CYCLE_1) | instskip(SKIP_1) | instid1(SALU_CYCLE_2)
	s_cvt_u32_f32 s22, s2
	s_wait_alu 0xfffe
	s_mul_u64 s[26:27], s[24:25], s[22:23]
	s_wait_alu 0xfffe
	s_mul_hi_u32 s29, s22, s27
	s_mul_i32 s28, s22, s27
	s_mul_hi_u32 s2, s22, s26
	s_mul_i32 s30, s23, s26
	s_wait_alu 0xfffe
	s_add_nc_u64 s[28:29], s[2:3], s[28:29]
	s_mul_hi_u32 s21, s23, s26
	s_mul_hi_u32 s31, s23, s27
	s_add_co_u32 s2, s28, s30
	s_wait_alu 0xfffe
	s_add_co_ci_u32 s2, s29, s21
	s_mul_i32 s26, s23, s27
	s_add_co_ci_u32 s27, s31, 0
	s_wait_alu 0xfffe
	s_add_nc_u64 s[26:27], s[2:3], s[26:27]
	s_wait_alu 0xfffe
	v_add_co_u32 v4, s2, s22, s26
	s_delay_alu instid0(VALU_DEP_1) | instskip(SKIP_1) | instid1(VALU_DEP_1)
	s_cmp_lg_u32 s2, 0
	s_add_co_ci_u32 s23, s23, s27
	v_readfirstlane_b32 s22, v4
	s_wait_alu 0xfffe
	s_delay_alu instid0(VALU_DEP_1)
	s_mul_u64 s[24:25], s[24:25], s[22:23]
	s_wait_alu 0xfffe
	s_mul_hi_u32 s27, s22, s25
	s_mul_i32 s26, s22, s25
	s_mul_hi_u32 s2, s22, s24
	s_mul_i32 s28, s23, s24
	s_wait_alu 0xfffe
	s_add_nc_u64 s[26:27], s[2:3], s[26:27]
	s_mul_hi_u32 s21, s23, s24
	s_mul_hi_u32 s22, s23, s25
	s_wait_alu 0xfffe
	s_add_co_u32 s2, s26, s28
	s_add_co_ci_u32 s2, s27, s21
	s_mul_i32 s24, s23, s25
	s_add_co_ci_u32 s25, s22, 0
	s_wait_alu 0xfffe
	s_add_nc_u64 s[24:25], s[2:3], s[24:25]
	s_wait_alu 0xfffe
	v_add_co_u32 v4, s2, v4, s24
	s_delay_alu instid0(VALU_DEP_1) | instskip(SKIP_1) | instid1(VALU_DEP_1)
	s_cmp_lg_u32 s2, 0
	s_add_co_ci_u32 s2, s23, s25
	v_mul_hi_u32 v13, v5, v4
	s_wait_alu 0xfffe
	v_mad_co_u64_u32 v[7:8], null, v5, s2, 0
	v_mad_co_u64_u32 v[9:10], null, v6, v4, 0
	;; [unrolled: 1-line block ×3, first 2 shown]
	s_delay_alu instid0(VALU_DEP_3) | instskip(SKIP_1) | instid1(VALU_DEP_4)
	v_add_co_u32 v4, vcc_lo, v13, v7
	s_wait_alu 0xfffd
	v_add_co_ci_u32_e32 v7, vcc_lo, 0, v8, vcc_lo
	s_delay_alu instid0(VALU_DEP_2) | instskip(SKIP_1) | instid1(VALU_DEP_2)
	v_add_co_u32 v4, vcc_lo, v4, v9
	s_wait_alu 0xfffd
	v_add_co_ci_u32_e32 v4, vcc_lo, v7, v10, vcc_lo
	s_wait_alu 0xfffd
	v_add_co_ci_u32_e32 v7, vcc_lo, 0, v12, vcc_lo
	s_delay_alu instid0(VALU_DEP_2) | instskip(SKIP_1) | instid1(VALU_DEP_2)
	v_add_co_u32 v4, vcc_lo, v4, v11
	s_wait_alu 0xfffd
	v_add_co_ci_u32_e32 v9, vcc_lo, 0, v7, vcc_lo
	s_delay_alu instid0(VALU_DEP_2) | instskip(SKIP_1) | instid1(VALU_DEP_3)
	v_mul_lo_u32 v10, s19, v4
	v_mad_co_u64_u32 v[7:8], null, s18, v4, 0
	v_mul_lo_u32 v11, s18, v9
	s_delay_alu instid0(VALU_DEP_2) | instskip(NEXT) | instid1(VALU_DEP_2)
	v_sub_co_u32 v7, vcc_lo, v5, v7
	v_add3_u32 v8, v8, v11, v10
	s_delay_alu instid0(VALU_DEP_1) | instskip(SKIP_1) | instid1(VALU_DEP_1)
	v_sub_nc_u32_e32 v10, v6, v8
	s_wait_alu 0xfffd
	v_subrev_co_ci_u32_e64 v10, s2, s19, v10, vcc_lo
	v_add_co_u32 v11, s2, v4, 2
	s_wait_alu 0xf1ff
	v_add_co_ci_u32_e64 v12, s2, 0, v9, s2
	v_sub_co_u32 v13, s2, v7, s18
	v_sub_co_ci_u32_e32 v8, vcc_lo, v6, v8, vcc_lo
	s_wait_alu 0xf1ff
	v_subrev_co_ci_u32_e64 v10, s2, 0, v10, s2
	s_delay_alu instid0(VALU_DEP_3) | instskip(NEXT) | instid1(VALU_DEP_3)
	v_cmp_le_u32_e32 vcc_lo, s18, v13
	v_cmp_eq_u32_e64 s2, s19, v8
	s_wait_alu 0xfffd
	v_cndmask_b32_e64 v13, 0, -1, vcc_lo
	v_cmp_le_u32_e32 vcc_lo, s19, v10
	s_wait_alu 0xfffd
	v_cndmask_b32_e64 v14, 0, -1, vcc_lo
	v_cmp_le_u32_e32 vcc_lo, s18, v7
	;; [unrolled: 3-line block ×3, first 2 shown]
	s_wait_alu 0xfffd
	v_cndmask_b32_e64 v15, 0, -1, vcc_lo
	v_cmp_eq_u32_e32 vcc_lo, s19, v10
	s_wait_alu 0xf1ff
	s_delay_alu instid0(VALU_DEP_2)
	v_cndmask_b32_e64 v7, v15, v7, s2
	s_wait_alu 0xfffd
	v_cndmask_b32_e32 v10, v14, v13, vcc_lo
	v_add_co_u32 v13, vcc_lo, v4, 1
	s_wait_alu 0xfffd
	v_add_co_ci_u32_e32 v14, vcc_lo, 0, v9, vcc_lo
	s_delay_alu instid0(VALU_DEP_3) | instskip(SKIP_2) | instid1(VALU_DEP_3)
	v_cmp_ne_u32_e32 vcc_lo, 0, v10
	s_wait_alu 0xfffd
	v_cndmask_b32_e32 v10, v13, v11, vcc_lo
	v_cndmask_b32_e32 v8, v14, v12, vcc_lo
	v_cmp_ne_u32_e32 vcc_lo, 0, v7
	s_wait_alu 0xfffd
	s_delay_alu instid0(VALU_DEP_2)
	v_dual_cndmask_b32 v23, v4, v10 :: v_dual_cndmask_b32 v24, v9, v8
.LBB0_4:                                ;   in Loop: Header=BB0_2 Depth=1
	s_wait_alu 0xfffe
	s_and_not1_saveexec_b32 s2, s20
	s_cbranch_execz .LBB0_6
; %bb.5:                                ;   in Loop: Header=BB0_2 Depth=1
	v_cvt_f32_u32_e32 v4, s18
	s_sub_co_i32 s20, 0, s18
	v_mov_b32_e32 v24, v3
	s_delay_alu instid0(VALU_DEP_2) | instskip(NEXT) | instid1(TRANS32_DEP_1)
	v_rcp_iflag_f32_e32 v4, v4
	v_mul_f32_e32 v4, 0x4f7ffffe, v4
	s_delay_alu instid0(VALU_DEP_1) | instskip(SKIP_1) | instid1(VALU_DEP_1)
	v_cvt_u32_f32_e32 v4, v4
	s_wait_alu 0xfffe
	v_mul_lo_u32 v7, s20, v4
	s_delay_alu instid0(VALU_DEP_1) | instskip(NEXT) | instid1(VALU_DEP_1)
	v_mul_hi_u32 v7, v4, v7
	v_add_nc_u32_e32 v4, v4, v7
	s_delay_alu instid0(VALU_DEP_1) | instskip(NEXT) | instid1(VALU_DEP_1)
	v_mul_hi_u32 v4, v5, v4
	v_mul_lo_u32 v7, v4, s18
	v_add_nc_u32_e32 v8, 1, v4
	s_delay_alu instid0(VALU_DEP_2) | instskip(NEXT) | instid1(VALU_DEP_1)
	v_sub_nc_u32_e32 v7, v5, v7
	v_subrev_nc_u32_e32 v9, s18, v7
	v_cmp_le_u32_e32 vcc_lo, s18, v7
	s_wait_alu 0xfffd
	s_delay_alu instid0(VALU_DEP_2) | instskip(NEXT) | instid1(VALU_DEP_1)
	v_dual_cndmask_b32 v7, v7, v9 :: v_dual_cndmask_b32 v4, v4, v8
	v_cmp_le_u32_e32 vcc_lo, s18, v7
	s_delay_alu instid0(VALU_DEP_2) | instskip(SKIP_1) | instid1(VALU_DEP_1)
	v_add_nc_u32_e32 v8, 1, v4
	s_wait_alu 0xfffd
	v_cndmask_b32_e32 v23, v4, v8, vcc_lo
.LBB0_6:                                ;   in Loop: Header=BB0_2 Depth=1
	s_wait_alu 0xfffe
	s_or_b32 exec_lo, exec_lo, s2
	s_load_b64 s[20:21], s[12:13], 0x0
	v_mul_lo_u32 v4, v24, s18
	v_mul_lo_u32 v9, v23, s19
	v_mad_co_u64_u32 v[7:8], null, v23, s18, 0
	s_add_nc_u64 s[14:15], s[14:15], 1
	s_add_nc_u64 s[12:13], s[12:13], 8
	s_wait_alu 0xfffe
	v_cmp_ge_u64_e64 s2, s[14:15], s[6:7]
	s_add_nc_u64 s[16:17], s[16:17], 8
	s_delay_alu instid0(VALU_DEP_2) | instskip(NEXT) | instid1(VALU_DEP_3)
	v_add3_u32 v4, v8, v9, v4
	v_sub_co_u32 v5, vcc_lo, v5, v7
	s_wait_alu 0xfffd
	s_delay_alu instid0(VALU_DEP_2) | instskip(SKIP_3) | instid1(VALU_DEP_2)
	v_sub_co_ci_u32_e32 v4, vcc_lo, v6, v4, vcc_lo
	s_and_b32 vcc_lo, exec_lo, s2
	s_wait_kmcnt 0x0
	v_mul_lo_u32 v6, s21, v5
	v_mul_lo_u32 v4, s20, v4
	v_mad_co_u64_u32 v[1:2], null, s20, v5, v[1:2]
	s_delay_alu instid0(VALU_DEP_1)
	v_add3_u32 v2, v6, v2, v4
	s_wait_alu 0xfffe
	s_cbranch_vccnz .LBB0_9
; %bb.7:                                ;   in Loop: Header=BB0_2 Depth=1
	v_dual_mov_b32 v5, v23 :: v_dual_mov_b32 v6, v24
	s_branch .LBB0_2
.LBB0_8:
	v_dual_mov_b32 v24, v6 :: v_dual_mov_b32 v23, v5
.LBB0_9:
	s_lshl_b64 s[2:3], s[6:7], 3
	s_load_b64 s[0:1], s[0:1], 0x20
	s_add_nc_u64 s[2:3], s[10:11], s[2:3]
	v_mul_hi_u32 v15, 0x4104105, v0
	s_load_b64 s[2:3], s[2:3], 0x0
	v_mov_b32_e32 v3, 0
	v_mov_b32_e32 v4, 0
                                        ; implicit-def: $vgpr47
                                        ; implicit-def: $vgpr30
                                        ; implicit-def: $vgpr45
                                        ; implicit-def: $vgpr43
                                        ; implicit-def: $vgpr28
                                        ; implicit-def: $vgpr37
                                        ; implicit-def: $vgpr26
                                        ; implicit-def: $vgpr41
                                        ; implicit-def: $vgpr51
                                        ; implicit-def: $vgpr39
                                        ; implicit-def: $vgpr49
                                        ; implicit-def: $vgpr53
	s_delay_alu instid0(VALU_DEP_1) | instskip(NEXT) | instid1(VALU_DEP_4)
	v_dual_mov_b32 v6, v4 :: v_dual_mov_b32 v5, v3
	v_mul_u32_u24_e32 v25, 63, v15
	v_dual_mov_b32 v12, v4 :: v_dual_mov_b32 v11, v3
	v_dual_mov_b32 v14, v4 :: v_dual_mov_b32 v13, v3
	v_dual_mov_b32 v10, v4 :: v_dual_mov_b32 v9, v3
	v_dual_mov_b32 v20, v4 :: v_dual_mov_b32 v19, v3
	s_wait_kmcnt 0x0
	v_cmp_gt_u64_e32 vcc_lo, s[0:1], v[23:24]
	v_dual_mov_b32 v8, v4 :: v_dual_mov_b32 v7, v3
	v_mul_lo_u32 v17, s2, v24
	v_mul_lo_u32 v18, s3, v23
	v_mad_co_u64_u32 v[1:2], null, s2, v23, v[1:2]
	v_dual_mov_b32 v16, v4 :: v_dual_mov_b32 v15, v3
	v_dual_mov_b32 v22, v4 :: v_dual_mov_b32 v21, v3
	v_sub_nc_u32_e32 v32, v0, v25
	v_dual_mov_b32 v24, v4 :: v_dual_mov_b32 v23, v3
	v_add3_u32 v2, v18, v2, v17
	v_dual_mov_b32 v18, v4 :: v_dual_mov_b32 v17, v3
	s_delay_alu instid0(VALU_DEP_2)
	v_lshlrev_b64_e32 v[34:35], 3, v[1:2]
	v_dual_mov_b32 v0, v3 :: v_dual_mov_b32 v1, v4
	s_and_saveexec_b32 s1, vcc_lo
; %bb.10:
	v_mov_b32_e32 v33, 0
	s_delay_alu instid0(VALU_DEP_3) | instskip(SKIP_2) | instid1(VALU_DEP_3)
	v_add_co_u32 v2, s0, s8, v34
	s_wait_alu 0xf1ff
	v_add_co_ci_u32_e64 v3, s0, s9, v35, s0
	v_lshlrev_b64_e32 v[0:1], 3, v[32:33]
	s_delay_alu instid0(VALU_DEP_1) | instskip(SKIP_1) | instid1(VALU_DEP_2)
	v_add_co_u32 v25, s0, v2, v0
	s_wait_alu 0xf1ff
	v_add_co_ci_u32_e64 v26, s0, v3, v1, s0
	s_clause 0x17
	global_load_b64 v[3:4], v[25:26], off
	global_load_b64 v[5:6], v[25:26], off offset:504
	global_load_b64 v[11:12], v[25:26], off offset:1008
	;; [unrolled: 1-line block ×23, first 2 shown]
; %bb.11:
	s_wait_alu 0xfffe
	s_or_b32 exec_lo, exec_lo, s1
	s_wait_loadcnt 0x13
	v_dual_sub_f32 v54, v3, v46 :: v_dual_sub_f32 v47, v4, v47
	s_wait_loadcnt 0x11
	v_dual_sub_f32 v56, v5, v52 :: v_dual_sub_f32 v31, v12, v49
	v_sub_f32_e32 v58, v6, v53
	s_delay_alu instid0(VALU_DEP_3) | instskip(SKIP_1) | instid1(VALU_DEP_4)
	v_fma_f32 v53, v3, 2.0, -v54
	v_sub_f32_e32 v3, v11, v48
	v_fma_f32 v55, v5, 2.0, -v56
	s_wait_loadcnt 0x10
	v_dual_sub_f32 v5, v13, v29 :: v_dual_sub_f32 v60, v14, v30
	v_fma_f32 v30, v12, 2.0, -v31
	s_wait_loadcnt 0xb
	v_dual_sub_f32 v12, v9, v44 :: v_dual_sub_f32 v45, v10, v45
	;; [unrolled: 3-line block ×3, first 2 shown]
	s_delay_alu instid0(VALU_DEP_3)
	v_fma_f32 v11, v9, 2.0, -v12
	s_wait_loadcnt 0x3
	v_dual_sub_f32 v9, v21, v50 :: v_dual_add_nc_u32 v62, 63, v32
	v_add_nc_u32_e32 v33, 0x7e, v32
	v_dual_sub_f32 v83, v22, v51 :: v_dual_add_nc_u32 v64, 0xbd, v32
	v_add_nc_u32_e32 v77, 0xfc, v32
	v_fma_f32 v59, v14, 2.0, -v60
	v_dual_sub_f32 v14, v19, v42 :: v_dual_sub_f32 v81, v20, v43
	v_sub_f32_e32 v39, v16, v28
	v_fma_f32 v28, v8, 2.0, -v29
	v_fma_f32 v8, v21, 2.0, -v9
	s_wait_loadcnt 0x2
	v_dual_sub_f32 v41, v18, v41 :: v_dual_add_nc_u32 v78, 0x13b, v32
	s_wait_loadcnt 0x0
	v_dual_sub_f32 v21, v0, v25 :: v_dual_add_nc_u32 v50, 0x237, v32
	v_sub_f32_e32 v25, v1, v26
	v_lshl_add_u32 v26, v32, 3, 0
	v_fma_f32 v65, v7, 2.0, -v66
	v_sub_f32_e32 v7, v15, v27
	v_dual_sub_f32 v37, v24, v37 :: v_dual_add_nc_u32 v76, 0x17a, v32
	v_lshl_add_u32 v27, v62, 3, 0
	v_lshl_add_u32 v42, v33, 3, 0
	v_add_nc_u32_e32 v79, 0x1b9, v32
	v_fma_f32 v46, v4, 2.0, -v47
	v_fma_f32 v4, v13, 2.0, -v5
	v_lshl_add_u32 v48, v64, 3, 0
	v_lshl_add_u32 v52, v77, 3, 0
	v_fma_f32 v13, v19, 2.0, -v14
	ds_store_b64 v26, v[53:54]
	ds_store_b64 v27, v[55:56]
	;; [unrolled: 1-line block ×4, first 2 shown]
	v_lshl_add_u32 v53, v78, 3, 0
	v_lshl_add_u32 v54, v76, 3, 0
	v_fma_f32 v57, v6, 2.0, -v58
	v_fma_f32 v38, v16, 2.0, -v39
	v_sub_f32_e32 v16, v17, v40
	v_fma_f32 v6, v15, 2.0, -v7
	v_lshl_add_u32 v55, v79, 3, 0
	v_add_nc_u32_e32 v43, 0x1f8, v32
	ds_store_b64 v52, v[11:12]
	ds_store_b64 v53, v[13:14]
	;; [unrolled: 1-line block ×4, first 2 shown]
	v_lshl_add_u32 v65, v32, 2, 0
	v_sub_f32_e32 v19, v23, v36
	v_add_nc_u32_e32 v49, 0x276, v32
	v_add_nc_u32_e32 v51, 0x2b5, v32
	v_lshl_add_u32 v56, v43, 3, 0
	v_fma_f32 v15, v17, 2.0, -v16
	v_lshl_add_u32 v61, v50, 3, 0
	v_add_nc_u32_e32 v66, 0xa00, v65
	v_fma_f32 v40, v18, 2.0, -v41
	v_lshl_add_u32 v63, v49, 3, 0
	v_add_nc_u32_e32 v68, 0x400, v65
	v_fma_f32 v18, v23, 2.0, -v19
	v_fma_f32 v80, v20, 2.0, -v81
	;; [unrolled: 1-line block ×3, first 2 shown]
	v_lshl_add_u32 v84, v51, 3, 0
	v_fma_f32 v82, v22, 2.0, -v83
	v_fma_f32 v36, v24, 2.0, -v37
	ds_store_b64 v56, v[8:9]
	ds_store_b64 v61, v[15:16]
	ds_store_b64 v63, v[18:19]
	ds_store_b64 v84, v[20:21]
	global_wb scope:SCOPE_SE
	s_wait_dscnt 0x0
	s_barrier_signal -1
	s_barrier_wait -1
	global_inv scope:SCOPE_SE
	v_add_nc_u32_e32 v70, 0x1000, v65
	v_fma_f32 v24, v1, 2.0, -v25
	ds_load_2addr_b32 v[0:1], v65 offset1:63
	ds_load_2addr_b32 v[22:23], v66 offset0:116 offset1:179
	v_add_nc_u32_e32 v67, 0xc00, v65
	v_add_nc_u32_e32 v73, 0x200, v65
	;; [unrolled: 1-line block ×5, first 2 shown]
	ds_load_2addr_b32 v[2:3], v65 offset0:126 offset1:189
	ds_load_2addr_b32 v[20:21], v67 offset0:114 offset1:177
	;; [unrolled: 1-line block ×5, first 2 shown]
	v_add_nc_u32_e32 v72, 0x800, v65
	v_fma_f32 v44, v10, 2.0, -v45
	v_add_nc_u32_e32 v71, 0x1400, v65
	ds_load_2addr_b32 v[16:17], v70 offset0:110 offset1:173
	ds_load_2addr_b32 v[8:9], v75 offset0:120 offset1:183
	;; [unrolled: 1-line block ×5, first 2 shown]
	global_wb scope:SCOPE_SE
	s_wait_dscnt 0x0
	s_barrier_signal -1
	s_barrier_wait -1
	global_inv scope:SCOPE_SE
	ds_store_b64 v26, v[46:47]
	ds_store_b64 v27, v[57:58]
	;; [unrolled: 1-line block ×8, first 2 shown]
	v_and_b32_e32 v44, 1, v32
	v_and_b32_e32 v45, 1, v62
	ds_store_b64 v56, v[82:83]
	ds_store_b64 v61, v[40:41]
	;; [unrolled: 1-line block ×4, first 2 shown]
	global_wb scope:SCOPE_SE
	s_wait_dscnt 0x0
	s_barrier_signal -1
	v_lshlrev_b32_e32 v24, 3, v44
	v_lshlrev_b32_e32 v26, 3, v45
	s_barrier_wait -1
	global_inv scope:SCOPE_SE
	s_clause 0x1
	global_load_b64 v[24:25], v24, s[4:5]
	global_load_b64 v[39:40], v26, s[4:5]
	ds_load_2addr_b32 v[89:90], v66 offset0:116 offset1:179
	v_and_b32_e32 v46, 1, v64
	v_and_b32_e32 v47, 1, v78
	;; [unrolled: 1-line block ×3, first 2 shown]
	v_lshlrev_b32_e32 v58, 1, v76
	v_cmp_gt_u32_e64 s0, 9, v32
	v_lshlrev_b32_e32 v26, 3, v46
	global_load_b64 v[41:42], v26, s[4:5]
	v_lshlrev_b32_e32 v26, 3, v47
	global_load_b64 v[28:29], v26, s[4:5]
	s_wait_loadcnt_dscnt 0x200
	v_dual_mul_f32 v80, v89, v25 :: v_dual_mul_f32 v113, v90, v40
	v_dual_mul_f32 v40, v23, v40 :: v_dual_mul_f32 v115, v20, v25
	s_delay_alu instid0(VALU_DEP_2) | instskip(SKIP_1) | instid1(VALU_DEP_3)
	v_fma_f32 v80, v22, v24, -v80
	v_mul_f32_e32 v22, v22, v25
	v_fmac_f32_e32 v40, v90, v39
	v_and_b32_e32 v48, 1, v79
	v_fma_f32 v23, v23, v39, -v113
	v_and_b32_e32 v86, 3, v33
	v_fmac_f32_e32 v22, v89, v24
	s_delay_alu instid0(VALU_DEP_4)
	v_lshlrev_b32_e32 v26, 3, v48
	global_load_b64 v[30:31], v26, s[4:5]
	v_lshlrev_b32_e32 v26, 3, v61
	v_lshlrev_b32_e32 v36, 1, v32
	global_load_b64 v[37:38], v26, s[4:5]
	v_and_b32_e32 v63, 1, v51
	s_delay_alu instid0(VALU_DEP_1)
	v_lshlrev_b32_e32 v26, 3, v63
	global_load_b64 v[26:27], v26, s[4:5]
	ds_load_2addr_b32 v[91:92], v67 offset0:114 offset1:177
	ds_load_2addr_b32 v[93:94], v69 offset0:112 offset1:175
	;; [unrolled: 1-line block ×5, first 2 shown]
	ds_load_2addr_b32 v[101:102], v65 offset1:63
	ds_load_2addr_b32 v[103:104], v65 offset0:126 offset1:189
	ds_load_2addr_b32 v[105:106], v73 offset0:124 offset1:187
	;; [unrolled: 1-line block ×5, first 2 shown]
	v_lshlrev_b32_e32 v53, 1, v62
	v_lshlrev_b32_e32 v56, 1, v77
	v_and_b32_e32 v52, 3, v32
	global_wb scope:SCOPE_SE
	s_wait_loadcnt_dscnt 0x0
	s_barrier_signal -1
	v_and_or_b32 v45, 0xfc, v53, v45
	s_barrier_wait -1
	global_inv scope:SCOPE_SE
	v_dual_mul_f32 v39, v91, v25 :: v_dual_mul_f32 v90, v92, v42
	v_and_or_b32 v113, 0x3fc, v56, v44
	v_fmac_f32_e32 v115, v91, v24
	v_and_b32_e32 v87, 3, v64
	s_delay_alu instid0(VALU_DEP_4) | instskip(SKIP_3) | instid1(VALU_DEP_2)
	v_fma_f32 v20, v20, v24, -v39
	v_fma_f32 v39, v21, v41, -v90
	v_mul_f32_e32 v21, v21, v42
	v_dual_sub_f32 v40, v102, v40 :: v_dual_lshlrev_b32 v57, 1, v78
	v_dual_sub_f32 v20, v2, v20 :: v_dual_fmac_f32 v21, v92, v41
	v_mul_f32_e32 v41, v94, v29
	v_mul_f32_e32 v29, v19, v29
	s_delay_alu instid0(VALU_DEP_3) | instskip(NEXT) | instid1(VALU_DEP_3)
	v_fma_f32 v2, v2, 2.0, -v20
	v_fma_f32 v19, v19, v28, -v41
	v_lshl_add_u32 v41, v45, 2, 0
	v_mul_f32_e32 v45, v93, v25
	v_fmac_f32_e32 v29, v94, v28
	v_lshl_add_u32 v94, v113, 2, 0
	v_mul_f32_e32 v113, v95, v25
	s_delay_alu instid0(VALU_DEP_4) | instskip(SKIP_1) | instid1(VALU_DEP_3)
	v_fma_f32 v45, v18, v24, -v45
	v_dual_mul_f32 v18, v18, v25 :: v_dual_lshlrev_b32 v55, 1, v64
	v_fma_f32 v113, v16, v24, -v113
	v_mul_f32_e32 v16, v16, v25
	v_lshlrev_b32_e32 v82, 1, v49
	s_delay_alu instid0(VALU_DEP_4) | instskip(NEXT) | instid1(VALU_DEP_3)
	v_dual_fmac_f32 v18, v93, v24 :: v_dual_lshlrev_b32 v59, 1, v79
	v_fmac_f32_e32 v16, v95, v24
	v_dual_mul_f32 v93, v96, v31 :: v_dual_and_b32 v88, 3, v62
	v_dual_mul_f32 v31, v17, v31 :: v_dual_lshlrev_b32 v54, 1, v33
	s_delay_alu instid0(VALU_DEP_2) | instskip(NEXT) | instid1(VALU_DEP_2)
	v_fma_f32 v17, v17, v30, -v93
	v_fmac_f32_e32 v31, v96, v30
	v_mul_f32_e32 v93, v97, v25
	v_mul_f32_e32 v30, v14, v25
	;; [unrolled: 1-line block ×3, first 2 shown]
	v_dual_mul_f32 v25, v12, v25 :: v_dual_lshlrev_b32 v60, 1, v43
	v_mul_f32_e32 v95, v98, v38
	v_fma_f32 v14, v14, v24, -v93
	v_fmac_f32_e32 v30, v97, v24
	s_delay_alu instid0(VALU_DEP_4)
	v_fmac_f32_e32 v25, v99, v24
	v_fma_f32 v12, v12, v24, -v96
	v_mul_f32_e32 v24, v15, v38
	v_mul_f32_e32 v38, v100, v27
	v_and_or_b32 v43, 0x7c, v36, v44
	v_fma_f32 v15, v15, v37, -v95
	s_delay_alu instid0(VALU_DEP_4)
	v_dual_mul_f32 v27, v13, v27 :: v_dual_fmac_f32 v24, v98, v37
	v_sub_f32_e32 v37, v0, v80
	v_fma_f32 v13, v13, v26, -v38
	v_dual_sub_f32 v12, v10, v12 :: v_dual_lshlrev_b32 v81, 1, v50
	v_dual_sub_f32 v14, v8, v14 :: v_dual_lshlrev_b32 v83, 1, v51
	v_dual_fmac_f32 v27, v100, v26 :: v_dual_and_b32 v84, 3, v76
	v_dual_sub_f32 v95, v107, v16 :: v_dual_sub_f32 v16, v1, v23
	v_sub_f32_e32 v17, v7, v17
	v_and_or_b32 v114, 0x1fc, v54, v44
	v_lshl_add_u32 v43, v43, 2, 0
	v_sub_f32_e32 v26, v4, v45
	v_and_or_b32 v46, 0x1fc, v55, v46
	v_dual_sub_f32 v93, v105, v18 :: v_dual_sub_f32 v18, v3, v39
	v_fma_f32 v0, v0, 2.0, -v37
	v_dual_sub_f32 v30, v109, v30 :: v_dual_and_b32 v85, 3, v79
	v_and_or_b32 v47, 0x2fc, v57, v47
	v_dual_sub_f32 v38, v6, v113 :: v_dual_sub_f32 v19, v5, v19
	v_dual_sub_f32 v24, v110, v24 :: v_dual_sub_f32 v15, v9, v15
	v_sub_f32_e32 v13, v11, v13
	v_and_or_b32 v89, 0x3fc, v58, v44
	v_and_or_b32 v48, 0x3fc, v59, v48
	;; [unrolled: 1-line block ×6, first 2 shown]
	v_dual_sub_f32 v45, v101, v22 :: v_dual_lshlrev_b32 v28, 3, v84
	v_fma_f32 v1, v1, 2.0, -v16
	v_lshl_add_u32 v92, v114, 2, 0
	v_sub_f32_e32 v80, v103, v115
	v_lshlrev_b32_e32 v91, 3, v87
	v_lshl_add_u32 v46, v46, 2, 0
	ds_store_2addr_b32 v43, v0, v37 offset1:2
	v_fma_f32 v0, v3, 2.0, -v18
	v_fma_f32 v4, v4, 2.0, -v26
	v_dual_sub_f32 v97, v104, v21 :: v_dual_and_b32 v50, 3, v50
	v_lshl_add_u32 v47, v47, 2, 0
	v_fma_f32 v6, v6, 2.0, -v38
	v_fma_f32 v8, v8, 2.0, -v14
	;; [unrolled: 1-line block ×7, first 2 shown]
	v_dual_sub_f32 v25, v111, v25 :: v_dual_lshlrev_b32 v90, 3, v86
	v_lshl_add_u32 v89, v89, 2, 0
	v_lshl_add_u32 v48, v48, 2, 0
	;; [unrolled: 1-line block ×6, first 2 shown]
	v_fma_f32 v39, v101, 2.0, -v45
	v_sub_f32_e32 v29, v106, v29
	v_sub_f32_e32 v31, v108, v31
	ds_store_2addr_b32 v41, v1, v16 offset1:2
	ds_store_2addr_b32 v92, v2, v20 offset1:2
	;; [unrolled: 1-line block ×11, first 2 shown]
	global_wb scope:SCOPE_SE
	s_wait_dscnt 0x0
	s_barrier_signal -1
	s_barrier_wait -1
	global_inv scope:SCOPE_SE
	ds_load_2addr_b32 v[10:11], v65 offset1:63
	ds_load_2addr_b32 v[16:17], v66 offset0:116 offset1:179
	ds_load_2addr_b32 v[8:9], v65 offset0:126 offset1:189
	;; [unrolled: 1-line block ×11, first 2 shown]
	v_and_b32_e32 v49, 3, v49
	v_sub_f32_e32 v27, v112, v27
	v_fma_f32 v37, v102, 2.0, -v40
	v_fma_f32 v96, v103, 2.0, -v80
	;; [unrolled: 1-line block ×11, first 2 shown]
	global_wb scope:SCOPE_SE
	s_wait_dscnt 0x0
	s_barrier_signal -1
	s_barrier_wait -1
	global_inv scope:SCOPE_SE
	ds_store_2addr_b32 v43, v39, v45 offset1:2
	ds_store_2addr_b32 v41, v37, v40 offset1:2
	;; [unrolled: 1-line block ×12, first 2 shown]
	global_wb scope:SCOPE_SE
	s_wait_dscnt 0x0
	s_barrier_signal -1
	s_barrier_wait -1
	global_inv scope:SCOPE_SE
	s_clause 0x1
	global_load_b64 v[47:48], v90, s[4:5] offset:16
	global_load_b64 v[45:46], v91, s[4:5] offset:16
	v_lshlrev_b32_e32 v25, 3, v52
	v_lshlrev_b32_e32 v24, 3, v85
	;; [unrolled: 1-line block ×3, first 2 shown]
	v_and_b32_e32 v89, 3, v78
	s_clause 0x3
	global_load_b64 v[43:44], v28, s[4:5] offset:16
	global_load_b64 v[28:29], v24, s[4:5] offset:16
	global_load_b64 v[24:25], v25, s[4:5] offset:16
	global_load_b64 v[39:40], v26, s[4:5] offset:16
	v_lshlrev_b32_e32 v26, 3, v50
	v_lshlrev_b32_e32 v30, 3, v89
	v_and_b32_e32 v51, 3, v51
	s_clause 0x1
	global_load_b64 v[26:27], v26, s[4:5] offset:16
	global_load_b64 v[41:42], v30, s[4:5] offset:16
	v_lshlrev_b32_e32 v30, 3, v49
	v_lshlrev_b32_e32 v31, 3, v51
	s_clause 0x1
	global_load_b64 v[37:38], v30, s[4:5] offset:16
	global_load_b64 v[30:31], v31, s[4:5] offset:16
	v_and_or_b32 v90, 0x78, v36, v52
	v_and_or_b32 v56, 0x3f8, v56, v52
	;; [unrolled: 1-line block ×5, first 2 shown]
	ds_load_2addr_b32 v[49:50], v67 offset0:114 offset1:177
	v_and_or_b32 v82, 0x5f8, v83, v51
	v_lshl_add_u32 v102, v52, 2, 0
	ds_load_2addr_b32 v[51:52], v70 offset0:110 offset1:173
	v_and_or_b32 v53, 0xf8, v53, v88
	v_and_or_b32 v54, 0x1f8, v54, v86
	;; [unrolled: 1-line block ×5, first 2 shown]
	v_lshl_add_u32 v93, v90, 2, 0
	v_lshl_add_u32 v95, v53, 2, 0
	;; [unrolled: 1-line block ×10, first 2 shown]
	s_wait_loadcnt_dscnt 0x901
	v_mul_f32_e32 v106, v49, v48
	v_and_or_b32 v57, 0x2f8, v57, v89
	v_dual_mul_f32 v48, v22, v48 :: v_dual_and_b32 v63, 7, v62
	s_wait_loadcnt 0x8
	v_mul_f32_e32 v107, v50, v46
	v_mul_f32_e32 v46, v23, v46
	v_lshl_add_u32 v99, v57, 2, 0
	v_fmac_f32_e32 v48, v49, v47
	ds_load_2addr_b32 v[53:54], v66 offset0:116 offset1:179
	ds_load_2addr_b32 v[55:56], v65 offset1:63
	ds_load_2addr_b32 v[57:58], v69 offset0:112 offset1:175
	ds_load_2addr_b32 v[59:60], v74 offset0:108 offset1:171
	;; [unrolled: 1-line block ×8, first 2 shown]
	v_and_b32_e32 v61, 7, v32
	s_wait_loadcnt_dscnt 0x60a
	v_dual_mul_f32 v109, v52, v29 :: v_dual_lshlrev_b32 v94, 4, v63
	v_mul_f32_e32 v108, v51, v44
	v_dual_mul_f32 v44, v20, v44 :: v_dual_mul_f32 v29, v21, v29
	v_fma_f32 v22, v22, v47, -v106
	s_wait_loadcnt 0x5
	v_mul_f32_e32 v47, v16, v25
	v_fma_f32 v23, v23, v45, -v107
	v_fmac_f32_e32 v46, v50, v45
	s_wait_dscnt 0x9
	v_mul_f32_e32 v110, v53, v25
	s_wait_loadcnt 0x4
	v_dual_mul_f32 v111, v54, v40 :: v_dual_lshlrev_b32 v80, 4, v61
	v_mul_f32_e32 v40, v17, v40
	s_wait_dscnt 0x7
	v_dual_mul_f32 v49, v57, v25 :: v_dual_fmac_f32 v44, v51, v43
	s_wait_loadcnt 0x2
	v_mul_f32_e32 v106, v58, v42
	v_mul_f32_e32 v45, v18, v25
	s_wait_loadcnt_dscnt 0x103
	v_dual_mul_f32 v50, v59, v25 :: v_dual_mul_f32 v51, v85, v38
	v_fma_f32 v20, v20, v43, -v108
	v_mul_f32_e32 v43, v60, v27
	v_fma_f32 v21, v21, v28, -v109
	s_wait_loadcnt 0x0
	v_dual_fmac_f32 v29, v52, v28 :: v_dual_mul_f32 v28, v86, v31
	v_dual_fmac_f32 v40, v54, v39 :: v_dual_fmac_f32 v47, v53, v24
	v_dual_mul_f32 v25, v14, v25 :: v_dual_mul_f32 v42, v19, v42
	v_dual_mul_f32 v27, v15, v27 :: v_dual_mul_f32 v38, v12, v38
	v_fma_f32 v16, v16, v24, -v110
	v_mul_f32_e32 v31, v13, v31
	v_fma_f32 v17, v17, v39, -v111
	v_fma_f32 v18, v18, v24, -v49
	;; [unrolled: 1-line block ×3, first 2 shown]
	v_sub_f32_e32 v16, v10, v16
	v_dual_fmac_f32 v45, v57, v24 :: v_dual_sub_f32 v22, v8, v22
	v_fma_f32 v14, v14, v24, -v50
	v_dual_fmac_f32 v25, v59, v24 :: v_dual_fmac_f32 v38, v85, v37
	v_fma_f32 v15, v15, v26, -v43
	v_fma_f32 v12, v12, v37, -v51
	;; [unrolled: 1-line block ×3, first 2 shown]
	v_dual_fmac_f32 v42, v58, v41 :: v_dual_fmac_f32 v27, v60, v26
	v_dual_sub_f32 v28, v81, v48 :: v_dual_fmac_f32 v31, v86, v30
	v_sub_f32_e32 v26, v56, v40
	v_sub_f32_e32 v24, v55, v47
	v_dual_sub_f32 v17, v11, v17 :: v_dual_sub_f32 v30, v82, v46
	v_dual_sub_f32 v23, v9, v23 :: v_dual_sub_f32 v18, v6, v18
	;; [unrolled: 1-line block ×4, first 2 shown]
	s_wait_dscnt 0x2
	v_dual_sub_f32 v106, v87, v44 :: v_dual_sub_f32 v21, v5, v21
	v_dual_sub_f32 v29, v88, v29 :: v_dual_sub_f32 v14, v2, v14
	s_wait_dscnt 0x1
	v_dual_sub_f32 v25, v89, v25 :: v_dual_sub_f32 v12, v0, v12
	v_sub_f32_e32 v15, v3, v15
	v_sub_f32_e32 v13, v1, v13
	;; [unrolled: 1-line block ×3, first 2 shown]
	s_wait_dscnt 0x0
	v_sub_f32_e32 v107, v91, v38
	v_sub_f32_e32 v31, v92, v31
	v_fma_f32 v10, v10, 2.0, -v16
	v_fma_f32 v108, v55, 2.0, -v24
	;; [unrolled: 1-line block ×17, first 2 shown]
	global_wb scope:SCOPE_SE
	s_barrier_signal -1
	s_barrier_wait -1
	global_inv scope:SCOPE_SE
	v_fma_f32 v84, v84, 2.0, -v86
	v_fma_f32 v87, v87, 2.0, -v106
	v_fma_f32 v88, v88, 2.0, -v29
	v_fma_f32 v89, v89, 2.0, -v25
	v_fma_f32 v90, v90, 2.0, -v27
	v_fma_f32 v91, v91, 2.0, -v107
	v_fma_f32 v92, v92, 2.0, -v31
	ds_store_2addr_b32 v93, v10, v16 offset1:4
	ds_store_2addr_b32 v95, v11, v17 offset1:4
	;; [unrolled: 1-line block ×12, first 2 shown]
	global_wb scope:SCOPE_SE
	s_wait_dscnt 0x0
	s_barrier_signal -1
	s_barrier_wait -1
	global_inv scope:SCOPE_SE
	ds_load_2addr_b32 v[43:44], v65 offset1:63
	ds_load_2addr_b32 v[59:60], v75 offset0:120 offset1:183
	ds_load_2addr_b32 v[57:58], v69 offset0:112 offset1:175
	;; [unrolled: 1-line block ×11, first 2 shown]
	global_wb scope:SCOPE_SE
	s_wait_dscnt 0x0
	s_barrier_signal -1
	s_barrier_wait -1
	global_inv scope:SCOPE_SE
	ds_store_2addr_b32 v93, v108, v24 offset1:4
	ds_store_2addr_b32 v95, v109, v26 offset1:4
	;; [unrolled: 1-line block ×12, first 2 shown]
	v_and_b32_e32 v86, 7, v76
	global_wb scope:SCOPE_SE
	s_wait_dscnt 0x0
	s_barrier_signal -1
	s_barrier_wait -1
	global_inv scope:SCOPE_SE
	s_clause 0x1
	global_load_b128 v[0:3], v80, s[4:5] offset:48
	global_load_b128 v[4:7], v94, s[4:5] offset:48
	v_lshrrev_b32_e32 v80, 3, v32
	v_lshrrev_b32_e32 v93, 3, v62
	;; [unrolled: 1-line block ×4, first 2 shown]
	v_and_b32_e32 v83, 7, v64
	v_and_b32_e32 v84, 7, v77
	v_mul_u32_u24_e32 v82, 24, v80
	v_lshrrev_b32_e32 v94, 3, v76
	v_lshrrev_b32_e32 v95, 3, v79
	v_mul_u32_u24_e32 v93, 24, v93
	v_mul_u32_u24_e32 v90, 24, v90
	;; [unrolled: 1-line block ×3, first 2 shown]
	v_or_b32_e32 v61, v82, v61
	v_mul_u32_u24_e32 v94, 24, v94
	v_mul_u32_u24_e32 v95, 24, v95
	v_or_b32_e32 v63, v93, v63
	v_or_b32_e32 v93, v91, v84
	v_lshlrev_b32_e32 v20, 4, v86
	v_or_b32_e32 v94, v94, v86
	v_lshl_add_u32 v102, v61, 2, 0
	v_lshlrev_b32_e32 v16, 4, v84
	v_and_b32_e32 v85, 7, v78
	v_and_b32_e32 v88, 0xff, v32
	v_lshrrev_b32_e32 v80, 3, v33
	v_lshrrev_b32_e32 v92, 3, v78
	global_load_b128 v[24:27], v16, s[4:5] offset:48
	v_lshl_add_u32 v105, v93, 2, 0
	v_lshl_add_u32 v107, v94, 2, 0
	v_mul_u32_u24_e32 v98, 24, v80
	v_mul_u32_u24_e32 v92, 24, v92
	v_lshl_add_u32 v63, v63, 2, 0
	s_wait_loadcnt 0x2
	v_mul_f32_e32 v112, v59, v1
	v_lshlrev_b32_e32 v12, 4, v83
	v_or_b32_e32 v83, v90, v83
	ds_load_2addr_b32 v[90:91], v69 offset0:112 offset1:175
	v_and_b32_e32 v87, 7, v79
	v_mul_f32_e32 v113, v57, v3
	global_load_b128 v[12:15], v12, s[4:5] offset:48
	v_mul_lo_u16 v96, 0xab, v88
	v_and_b32_e32 v88, 0xff, v33
	v_lshlrev_b32_e32 v28, 4, v87
	v_or_b32_e32 v61, v95, v87
	ds_load_2addr_b32 v[86:87], v75 offset0:120 offset1:183
	v_and_b32_e32 v81, 7, v33
	v_lshrrev_b16 v82, 12, v96
	v_lshl_add_u32 v104, v83, 2, 0
	v_lshl_add_u32 v108, v61, 2, 0
	s_delay_alu instid0(VALU_DEP_3)
	v_mul_lo_u16 v95, v82, 24
	s_wait_dscnt 0x1
	v_fmac_f32_e32 v113, v90, v2
	s_wait_dscnt 0x0
	v_fmac_f32_e32 v112, v86, v0
	v_lshlrev_b32_e32 v8, 4, v81
	v_mul_f32_e32 v61, v86, v1
	global_load_b128 v[20:23], v20, s[4:5] offset:48
	s_wait_loadcnt 0x3
	v_mul_f32_e32 v86, v58, v7
	v_dual_mul_f32 v1, v90, v3 :: v_dual_lshlrev_b32 v16, 4, v85
	global_load_b128 v[8:11], v8, s[4:5] offset:48
	v_mul_f32_e32 v3, v87, v5
	s_clause 0x1
	global_load_b128 v[28:31], v28, s[4:5] offset:48
	global_load_b128 v[16:19], v16, s[4:5] offset:48
	v_and_b32_e32 v97, 0xff, v62
	v_or_b32_e32 v81, v98, v81
	v_or_b32_e32 v92, v92, v85
	v_fma_f32 v59, v59, v0, -v61
	v_fma_f32 v57, v57, v2, -v1
	v_fmac_f32_e32 v86, v91, v6
	v_lshl_add_u32 v103, v81, 2, 0
	v_sub_nc_u16 v81, v32, v95
	v_lshl_add_u32 v106, v92, 2, 0
	v_mul_f32_e32 v61, v60, v5
	v_mul_f32_e32 v5, v91, v7
	v_fma_f32 v60, v60, v4, -v3
	s_delay_alu instid0(VALU_DEP_3)
	v_fmac_f32_e32 v61, v87, v4
	s_wait_loadcnt 0x2
	v_mul_f32_e32 v90, v55, v9
	v_mul_lo_u16 v96, 0xab, v97
	v_mul_lo_u16 v97, 0xab, v88
	v_and_b32_e32 v83, 0xff, v81
	v_mul_lo_u16 v88, v88, 57
	s_delay_alu instid0(VALU_DEP_4) | instskip(NEXT) | instid1(VALU_DEP_4)
	v_lshrrev_b16 v84, 12, v96
	v_lshrrev_b16 v85, 12, v97
	s_delay_alu instid0(VALU_DEP_2) | instskip(NEXT) | instid1(VALU_DEP_2)
	v_mul_lo_u16 v96, v84, 24
	v_mul_lo_u16 v109, v85, 24
	s_delay_alu instid0(VALU_DEP_2) | instskip(NEXT) | instid1(VALU_DEP_1)
	v_sub_nc_u16 v95, v62, v96
	v_and_b32_e32 v81, 0xff, v95
	ds_load_2addr_b32 v[92:93], v72 offset0:118 offset1:181
	ds_load_2addr_b32 v[94:95], v70 offset0:110 offset1:173
	;; [unrolled: 1-line block ×6, first 2 shown]
	v_and_b32_e32 v89, 0xff, v64
	ds_load_2addr_b32 v[2:3], v65 offset1:63
	s_wait_dscnt 0x6
	v_fmac_f32_e32 v90, v92, v8
	v_dual_mul_f32 v87, v92, v9 :: v_dual_lshlrev_b32 v110, 4, v83
	s_wait_dscnt 0x5
	v_mul_f32_e32 v9, v94, v11
	v_mul_f32_e32 v11, v53, v11
	s_wait_dscnt 0x1
	v_mul_f32_e32 v92, v0, v23
	v_fma_f32 v55, v55, v8, -v87
	v_mul_f32_e32 v87, v95, v15
	v_mul_f32_e32 v15, v54, v15
	v_fma_f32 v53, v53, v10, -v9
	v_dual_fmac_f32 v11, v94, v10 :: v_dual_mul_f32 v10, v93, v13
	s_delay_alu instid0(VALU_DEP_4)
	v_fma_f32 v54, v54, v14, -v87
	s_wait_loadcnt 0x0
	v_dual_fmac_f32 v15, v95, v14 :: v_dual_mul_f32 v14, v52, v17
	v_fma_f32 v58, v58, v6, -v5
	ds_load_2addr_b32 v[6:7], v73 offset0:124 offset1:187
	v_mul_f32_e32 v13, v56, v13
	v_fma_f32 v10, v56, v12, -v10
	v_mul_f32_e32 v56, v96, v25
	ds_load_2addr_b32 v[4:5], v65 offset0:126 offset1:189
	ds_load_2addr_b32 v[8:9], v68 offset0:122 offset1:185
	v_dual_fmac_f32 v13, v93, v12 :: v_dual_mul_f32 v12, v51, v25
	v_mul_f32_e32 v25, v98, v27
	v_mul_f32_e32 v27, v49, v27
	;; [unrolled: 1-line block ×3, first 2 shown]
	v_fma_f32 v51, v51, v24, -v56
	v_lshlrev_b32_e32 v111, 4, v81
	v_mul_f32_e32 v91, v100, v21
	v_fmac_f32_e32 v12, v96, v24
	v_fma_f32 v24, v49, v26, -v25
	v_mul_f32_e32 v23, v45, v23
	v_fma_f32 v49, v52, v16, -v87
	v_sub_f32_e32 v52, v60, v58
	v_dual_fmac_f32 v27, v98, v26 :: v_dual_add_f32 v94, v39, v51
	v_mul_f32_e32 v25, v101, v29
	v_dual_mul_f32 v26, v48, v29 :: v_dual_mul_f32 v17, v99, v19
	v_dual_mul_f32 v19, v50, v19 :: v_dual_add_f32 v98, v40, v49
	v_fmac_f32_e32 v14, v97, v16
	s_delay_alu instid0(VALU_DEP_3) | instskip(NEXT) | instid1(VALU_DEP_4)
	v_fmac_f32_e32 v26, v101, v28
	v_fma_f32 v16, v50, v18, -v17
	s_delay_alu instid0(VALU_DEP_4)
	v_fmac_f32_e32 v19, v99, v18
	v_fma_f32 v17, v47, v20, -v91
	v_dual_add_f32 v56, v41, v55 :: v_dual_mul_f32 v21, v47, v21
	s_wait_dscnt 0x2
	v_dual_sub_f32 v96, v12, v27 :: v_dual_add_f32 v97, v6, v12
	v_add_f32_e32 v12, v12, v27
	v_fmac_f32_e32 v23, v0, v22
	v_fma_f32 v0, v48, v28, -v25
	v_dual_add_f32 v28, v2, v112 :: v_dual_mul_f32 v29, v1, v31
	v_mul_f32_e32 v31, v46, v31
	v_dual_fmac_f32 v21, v100, v20 :: v_dual_sub_f32 v100, v14, v19
	v_fma_f32 v18, v45, v22, -v92
	v_dual_add_f32 v22, v59, v57 :: v_dual_add_f32 v45, v44, v60
	v_add_f32_e32 v48, v3, v61
	v_add_f32_e32 v28, v28, v113
	v_fma_f32 v20, v46, v30, -v29
	v_add_f32_e32 v29, v112, v113
	v_add_f32_e32 v46, v60, v58
	v_sub_f32_e32 v25, v112, v113
	v_add_f32_e32 v112, v37, v17
	v_fmac_f32_e32 v31, v1, v30
	v_dual_add_f32 v1, v43, v59 :: v_dual_add_f32 v114, v17, v18
	v_dual_sub_f32 v30, v59, v57 :: v_dual_sub_f32 v47, v61, v86
	v_dual_add_f32 v50, v61, v86 :: v_dual_add_f32 v59, v55, v53
	v_dual_add_f32 v86, v48, v86 :: v_dual_add_f32 v87, v90, v11
	v_add_f32_e32 v113, v38, v0
	v_dual_add_f32 v101, v7, v14 :: v_dual_add_f32 v14, v14, v19
	v_fmac_f32_e32 v44, -0.5, v46
	s_wait_dscnt 0x0
	v_add_f32_e32 v48, v9, v26
	v_fma_f32 v22, -0.5, v22, v43
	v_fma_f32 v6, -0.5, v12, v6
	v_dual_add_f32 v45, v45, v58 :: v_dual_add_f32 v58, v0, v20
	v_add_f32_e32 v61, v4, v90
	v_dual_sub_f32 v0, v0, v20 :: v_dual_add_f32 v1, v1, v57
	v_dual_add_f32 v57, v8, v21 :: v_dual_sub_f32 v46, v26, v31
	v_add_f32_e32 v26, v26, v31
	v_sub_f32_e32 v60, v90, v11
	v_add_f32_e32 v90, v42, v10
	v_sub_f32_e32 v92, v13, v15
	v_add_f32_e32 v93, v5, v13
	v_add_f32_e32 v13, v13, v15
	;; [unrolled: 1-line block ×3, first 2 shown]
	v_fmac_f32_e32 v7, -0.5, v14
	v_add_f32_e32 v14, v112, v18
	v_fmac_f32_e32 v38, -0.5, v58
	v_dual_fmac_f32 v9, -0.5, v26 :: v_dual_fmamk_f32 v26, v25, 0x3f5db3d7, v22
	v_dual_fmac_f32 v22, 0xbf5db3d7, v25 :: v_dual_add_f32 v95, v51, v24
	v_dual_fmac_f32 v40, -0.5, v99 :: v_dual_sub_f32 v51, v51, v24
	v_dual_fmac_f32 v3, -0.5, v50 :: v_dual_add_f32 v50, v56, v53
	v_fma_f32 v4, -0.5, v87, v4
	v_sub_f32_e32 v17, v17, v18
	v_dual_add_f32 v18, v57, v23 :: v_dual_add_f32 v91, v10, v54
	v_fmac_f32_e32 v5, -0.5, v13
	v_dual_add_f32 v13, v94, v24 :: v_dual_add_f32 v24, v97, v27
	s_delay_alu instid0(VALU_DEP_3)
	v_dual_sub_f32 v55, v55, v53 :: v_dual_fmac_f32 v42, -0.5, v91
	v_fma_f32 v12, -0.5, v114, v37
	v_dual_add_f32 v53, v90, v54 :: v_dual_fmamk_f32 v90, v51, 0xbf5db3d7, v6
	v_fmac_f32_e32 v6, 0x3f5db3d7, v51
	v_sub_f32_e32 v115, v21, v23
	v_add_f32_e32 v21, v21, v23
	v_fma_f32 v2, -0.5, v29, v2
	v_fma_f32 v23, -0.5, v59, v41
	;; [unrolled: 1-line block ×3, first 2 shown]
	v_fmamk_f32 v39, v92, 0x3f5db3d7, v42
	v_fmac_f32_e32 v42, 0xbf5db3d7, v92
	v_fma_f32 v8, -0.5, v21, v8
	v_dual_sub_f32 v10, v10, v54 :: v_dual_sub_f32 v49, v49, v16
	v_fmamk_f32 v29, v47, 0x3f5db3d7, v44
	v_fmac_f32_e32 v44, 0xbf5db3d7, v47
	v_dual_add_f32 v11, v61, v11 :: v_dual_add_f32 v16, v98, v16
	v_add_f32_e32 v21, v48, v31
	v_fmamk_f32 v25, v30, 0xbf5db3d7, v2
	v_fmac_f32_e32 v2, 0x3f5db3d7, v30
	v_fmamk_f32 v30, v52, 0xbf5db3d7, v3
	v_fmamk_f32 v31, v60, 0x3f5db3d7, v23
	;; [unrolled: 1-line block ×3, first 2 shown]
	v_fmac_f32_e32 v4, 0x3f5db3d7, v55
	v_add_f32_e32 v15, v93, v15
	v_fmamk_f32 v41, v100, 0x3f5db3d7, v40
	v_fmac_f32_e32 v40, 0xbf5db3d7, v100
	v_fmamk_f32 v43, v115, 0x3f5db3d7, v12
	v_fmamk_f32 v92, v17, 0xbf5db3d7, v8
	v_fmac_f32_e32 v8, 0x3f5db3d7, v17
	v_fmamk_f32 v17, v46, 0x3f5db3d7, v38
	v_fmac_f32_e32 v38, 0xbf5db3d7, v46
	global_wb scope:SCOPE_SE
	s_barrier_signal -1
	s_barrier_wait -1
	global_inv scope:SCOPE_SE
	v_fmac_f32_e32 v3, 0x3f5db3d7, v52
	v_fmac_f32_e32 v23, 0xbf5db3d7, v60
	v_fmamk_f32 v87, v10, 0xbf5db3d7, v5
	v_fmac_f32_e32 v5, 0x3f5db3d7, v10
	v_fmamk_f32 v10, v96, 0x3f5db3d7, v27
	v_add_f32_e32 v20, v113, v20
	v_fmac_f32_e32 v27, 0xbf5db3d7, v96
	v_fmamk_f32 v91, v49, 0xbf5db3d7, v7
	v_fmac_f32_e32 v7, 0x3f5db3d7, v49
	v_fmac_f32_e32 v12, 0xbf5db3d7, v115
	ds_store_2addr_b32 v102, v1, v26 offset1:8
	ds_store_b32 v102, v22 offset:64
	ds_store_2addr_b32 v63, v45, v29 offset1:8
	ds_store_b32 v63, v44 offset:64
	;; [unrolled: 2-line block ×8, first 2 shown]
	global_wb scope:SCOPE_SE
	s_wait_dscnt 0x0
	s_barrier_signal -1
	s_barrier_wait -1
	global_inv scope:SCOPE_SE
	ds_load_2addr_b32 v[44:45], v65 offset1:63
	ds_load_2addr_b32 v[60:61], v75 offset0:120 offset1:183
	ds_load_2addr_b32 v[58:59], v69 offset0:112 offset1:175
	;; [unrolled: 1-line block ×11, first 2 shown]
	v_and_b32_e32 v95, 0xffff, v76
	v_and_b32_e32 v99, 0xffff, v79
	v_add_f32_e32 v19, v101, v19
	v_fmamk_f32 v93, v0, 0xbf5db3d7, v9
	v_fmac_f32_e32 v9, 0x3f5db3d7, v0
	v_mul_u32_u24_e32 v13, 0xaaab, v95
	v_mul_u32_u24_e32 v16, 0xaaab, v99
	global_wb scope:SCOPE_SE
	s_wait_dscnt 0x0
	s_barrier_signal -1
	s_barrier_wait -1
	global_inv scope:SCOPE_SE
	ds_store_2addr_b32 v102, v28, v25 offset1:8
	ds_store_b32 v102, v2 offset:64
	ds_store_2addr_b32 v63, v86, v30 offset1:8
	ds_store_b32 v63, v3 offset:64
	;; [unrolled: 2-line block ×8, first 2 shown]
	global_wb scope:SCOPE_SE
	s_wait_dscnt 0x0
	s_barrier_signal -1
	s_barrier_wait -1
	global_inv scope:SCOPE_SE
	s_clause 0x1
	global_load_b128 v[4:7], v110, s[4:5] offset:176
	global_load_b128 v[0:3], v111, s[4:5] offset:176
	v_lshrrev_b32_e32 v98, 20, v13
	v_lshrrev_b32_e32 v101, 20, v16
	v_mul_lo_u16 v8, 0xab, v89
	v_and_b32_e32 v90, 0xffff, v77
	v_sub_nc_u16 v9, v33, v109
	v_mul_lo_u16 v17, v98, 24
	v_mul_lo_u16 v20, v101, 24
	v_lshrrev_b16 v86, 12, v8
	v_and_b32_e32 v91, 0xffff, v78
	v_mul_u32_u24_e32 v8, 0xaaab, v90
	v_sub_nc_u16 v16, v76, v17
	v_sub_nc_u16 v24, v79, v20
	v_mov_b32_e32 v37, 0
	v_mul_u32_u24_e32 v10, 0xaaab, v91
	v_lshrrev_b32_e32 v93, 20, v8
	v_and_b32_e32 v102, 0xffff, v16
	v_and_b32_e32 v103, 0xffff, v24
	v_mul_u32_u24_e32 v95, 0xe38f, v95
	v_lshrrev_b32_e32 v96, 20, v10
	v_mul_lo_u16 v14, v93, 24
	v_lshlrev_b32_e32 v25, 4, v102
	v_lshlrev_b32_e32 v28, 4, v103
	v_lshrrev_b16 v113, 12, v88
	v_and_b32_e32 v82, 0xffff, v82
	v_sub_nc_u16 v13, v77, v14
	s_clause 0x1
	global_load_b128 v[24:27], v25, s[4:5] offset:176
	global_load_b128 v[28:31], v28, s[4:5] offset:176
	v_and_b32_e32 v87, 0xff, v9
	v_mul_lo_u16 v9, v86, 24
	v_and_b32_e32 v97, 0xffff, v13
	v_lshrrev_b32_e32 v116, 22, v95
	v_and_b32_e32 v84, 0xffff, v84
	v_lshlrev_b32_e32 v8, 4, v87
	v_sub_nc_u16 v12, v64, v9
	v_lshlrev_b32_e32 v17, 4, v97
	v_mul_lo_u16 v95, 0x48, v113
	v_mul_u32_u24_e32 v88, 0x120, v82
	global_load_b128 v[8:11], v8, s[4:5] offset:176
	v_and_b32_e32 v94, 0xff, v12
	v_mul_lo_u16 v12, v96, 24
	v_and_b32_e32 v82, 0xffff, v86
	v_mul_u32_u24_e32 v86, 0x120, v93
	v_mul_u32_u24_e32 v93, 0x120, v101
	v_lshlrev_b32_e32 v14, 4, v94
	v_sub_nc_u16 v18, v78, v12
	v_mul_u32_u24_e32 v101, 0x120, v84
	v_sub_nc_u16 v84, v33, v95
	v_lshlrev_b32_e32 v104, 2, v83
	global_load_b128 v[12:15], v14, s[4:5] offset:176
	v_and_b32_e32 v100, 0xffff, v18
	global_load_b128 v[16:19], v17, s[4:5] offset:176
	v_and_b32_e32 v117, 0xff, v84
	v_lshlrev_b32_e32 v105, 2, v81
	ds_load_2addr_b32 v[83:84], v69 offset0:112 offset1:175
	v_lshlrev_b32_e32 v21, 4, v100
	v_add3_u32 v118, 0, v88, v104
	v_lshlrev_b32_e32 v88, 2, v94
	v_lshlrev_b32_e32 v94, 2, v97
	;; [unrolled: 1-line block ×3, first 2 shown]
	global_load_b128 v[20:23], v21, s[4:5] offset:176
	v_lshlrev_b32_e32 v100, 2, v102
	v_lshlrev_b32_e32 v102, 2, v103
	v_add3_u32 v119, 0, v101, v105
	v_mul_lo_u16 v89, v89, 57
	v_mul_u32_u24_e32 v90, 0xe38f, v90
	v_lshlrev_b32_e32 v87, 2, v87
	v_add3_u32 v122, 0, v93, v102
	v_add3_u32 v121, 0, v86, v94
	v_lshrrev_b16 v114, 12, v89
	v_lshrrev_b32_e32 v115, 22, v90
	v_mul_u32_u24_e32 v89, 0x120, v96
	v_mul_u32_u24_e32 v90, 0x120, v98
	s_delay_alu instid0(VALU_DEP_4) | instskip(NEXT) | instid1(VALU_DEP_4)
	v_mul_lo_u16 v96, 0x48, v114
	v_mul_lo_u16 v98, 0x48, v115
	s_delay_alu instid0(VALU_DEP_4) | instskip(NEXT) | instid1(VALU_DEP_4)
	v_add3_u32 v97, 0, v89, v97
	v_add3_u32 v100, 0, v90, v100
	s_delay_alu instid0(VALU_DEP_4)
	v_sub_nc_u16 v96, v64, v96
	s_wait_loadcnt 0x7
	v_mul_f32_e32 v103, v58, v7
	v_mul_u32_u24_e32 v95, 0x120, v82
	ds_load_2addr_b32 v[81:82], v75 offset0:120 offset1:183
	s_wait_dscnt 0x1
	v_dual_mul_f32 v102, v60, v5 :: v_dual_fmac_f32 v103, v83, v6
	v_add3_u32 v95, 0, v95, v88
	s_wait_dscnt 0x0
	v_mul_f32_e32 v101, v81, v5
	v_mul_f32_e32 v5, v83, v7
	s_wait_loadcnt 0x6
	v_mul_f32_e32 v7, v82, v1
	v_mul_f32_e32 v83, v61, v1
	;; [unrolled: 1-line block ×4, first 2 shown]
	v_fma_f32 v101, v60, v4, -v101
	v_fma_f32 v104, v61, v0, -v7
	v_and_b32_e32 v85, 0xffff, v85
	v_fmac_f32_e32 v83, v82, v0
	v_fmac_f32_e32 v102, v81, v4
	v_fma_f32 v81, v58, v6, -v5
	v_fma_f32 v0, v59, v2, -v1
	v_mul_u32_u24_e32 v85, 0x120, v85
	v_fmac_f32_e32 v3, v84, v2
	s_wait_loadcnt 0x3
	v_mul_f32_e32 v84, v56, v9
	s_delay_alu instid0(VALU_DEP_3)
	v_add3_u32 v120, 0, v85, v87
	ds_load_2addr_b32 v[85:86], v72 offset0:118 offset1:181
	ds_load_2addr_b32 v[87:88], v70 offset0:110 offset1:173
	;; [unrolled: 1-line block ×7, first 2 shown]
	ds_load_2addr_b32 v[60:61], v65 offset1:63
	ds_load_2addr_b32 v[58:59], v65 offset0:126 offset1:189
	s_wait_dscnt 0x7
	v_dual_mul_f32 v82, v85, v9 :: v_dual_mul_f32 v9, v87, v11
	v_dual_mul_f32 v11, v54, v11 :: v_dual_fmac_f32 v84, v85, v8
	s_wait_dscnt 0x4
	v_mul_f32_e32 v85, v4, v25
	s_delay_alu instid0(VALU_DEP_3)
	v_fma_f32 v56, v56, v8, -v82
	s_wait_loadcnt 0x0
	v_mul_f32_e32 v82, v94, v23
	v_mul_f32_e32 v23, v51, v23
	v_fma_f32 v54, v54, v10, -v9
	v_mul_f32_e32 v25, v48, v25
	ds_load_2addr_b32 v[8:9], v68 offset0:122 offset1:185
	v_mul_u32_u24_e32 v91, 0xe38f, v91
	v_fmac_f32_e32 v23, v94, v22
	v_dual_fmac_f32 v11, v87, v10 :: v_dual_mul_f32 v10, v86, v13
	v_mul_f32_e32 v13, v57, v13
	v_fmac_f32_e32 v25, v4, v24
	v_lshrrev_b32_e32 v91, 22, v91
	global_wb scope:SCOPE_SE
	s_wait_dscnt 0x0
	v_fma_f32 v10, v57, v12, -v10
	v_mul_f32_e32 v57, v88, v15
	v_mul_f32_e32 v15, v55, v15
	v_dual_fmac_f32 v13, v86, v12 :: v_dual_mul_f32 v12, v89, v17
	v_mul_f32_e32 v17, v52, v17
	s_delay_alu instid0(VALU_DEP_4) | instskip(SKIP_4) | instid1(VALU_DEP_4)
	v_fma_f32 v55, v55, v14, -v57
	v_mul_f32_e32 v57, v93, v19
	v_mul_f32_e32 v19, v50, v19
	v_fma_f32 v12, v52, v16, -v12
	v_dual_fmac_f32 v17, v89, v16 :: v_dual_mul_f32 v52, v7, v31
	v_fma_f32 v16, v50, v18, -v57
	s_delay_alu instid0(VALU_DEP_4)
	v_dual_fmac_f32 v19, v93, v18 :: v_dual_mul_f32 v18, v6, v27
	v_mul_f32_e32 v50, v5, v29
	v_mul_f32_e32 v29, v49, v29
	;; [unrolled: 1-line block ×3, first 2 shown]
	v_add_f32_e32 v89, v12, v16
	v_fma_f32 v4, v46, v26, -v18
	v_dual_mul_f32 v27, v46, v27 :: v_dual_add_f32 v18, v44, v101
	v_fmac_f32_e32 v29, v5, v28
	v_fma_f32 v5, v47, v30, -v52
	v_add_f32_e32 v52, v42, v56
	s_delay_alu instid0(VALU_DEP_4)
	v_fmac_f32_e32 v27, v6, v26
	v_fma_f32 v6, v49, v28, -v50
	v_dual_add_f32 v18, v18, v81 :: v_dual_fmac_f32 v15, v88, v14
	v_mul_f32_e32 v14, v90, v21
	v_dual_mul_f32 v21, v53, v21 :: v_dual_add_f32 v26, v60, v102
	v_add_f32_e32 v46, v45, v104
	v_add_f32_e32 v47, v104, v0
	s_delay_alu instid0(VALU_DEP_4)
	v_fma_f32 v14, v53, v20, -v14
	v_add_f32_e32 v53, v56, v54
	v_sub_f32_e32 v56, v56, v54
	v_fmac_f32_e32 v31, v7, v30
	v_fmac_f32_e32 v21, v90, v20
	v_fma_f32 v20, v51, v22, -v82
	v_add_f32_e32 v94, v41, v14
	v_sub_f32_e32 v30, v101, v81
	v_add_f32_e32 v49, v61, v83
	v_sub_f32_e32 v51, v104, v0
	v_add_f32_e32 v7, v101, v81
	v_add_f32_e32 v101, v14, v20
	v_sub_f32_e32 v14, v14, v20
	v_dual_add_f32 v50, v83, v3 :: v_dual_add_nc_u32 v63, -9, v32
	v_dual_add_f32 v81, v8, v25 :: v_dual_add_f32 v20, v94, v20
	v_fma_f32 v22, v48, v24, -v85
	v_sub_f32_e32 v48, v83, v3
	v_add_f32_e32 v83, v43, v10
	v_add_f32_e32 v85, v10, v55
	v_sub_f32_e32 v10, v10, v55
	v_sub_f32_e32 v24, v102, v103
	v_add_f32_e32 v28, v102, v103
	v_add_f32_e32 v26, v26, v103
	v_sub_f32_e32 v103, v25, v27
	v_add_f32_e32 v25, v25, v27
	v_add_f32_e32 v105, v38, v22
	;; [unrolled: 1-line block ×3, first 2 shown]
	v_sub_f32_e32 v22, v22, v4
	v_add_f32_e32 v0, v46, v0
	v_fma_f32 v8, -0.5, v25, v8
	v_dual_add_f32 v46, v39, v6 :: v_dual_fmac_f32 v45, -0.5, v47
	v_add_f32_e32 v47, v6, v5
	v_add_f32_e32 v3, v49, v3
	v_fma_f32 v7, -0.5, v7, v44
	v_add_f32_e32 v44, v52, v54
	v_dual_fmamk_f32 v54, v22, 0xbf5db3d7, v8 :: v_dual_add_f32 v49, v9, v29
	v_add_f32_e32 v82, v58, v84
	v_dual_sub_f32 v6, v6, v5 :: v_dual_fmac_f32 v61, -0.5, v50
	v_add_f32_e32 v50, v29, v31
	v_sub_f32_e32 v29, v29, v31
	v_add_f32_e32 v5, v46, v5
	v_fmac_f32_e32 v39, -0.5, v47
	v_add_f32_e32 v46, v49, v31
	v_add_f32_e32 v104, v21, v23
	v_dual_sub_f32 v57, v84, v11 :: v_dual_fmac_f32 v8, 0x3f5db3d7, v22
	v_add_f32_e32 v84, v84, v11
	v_fma_f32 v47, -0.5, v28, v60
	v_fmamk_f32 v22, v29, 0x3f5db3d7, v39
	v_fma_f32 v28, -0.5, v53, v42
	s_wait_alu 0xf1ff
	v_cndmask_b32_e64 v92, v63, v62, s0
	v_fma_f32 v42, -0.5, v84, v58
	v_add_f32_e32 v88, v40, v12
	v_fma_f32 v31, -0.5, v89, v40
	v_fmamk_f32 v25, v24, 0x3f5db3d7, v7
	v_fmac_f32_e32 v7, 0xbf5db3d7, v24
	v_fmamk_f32 v24, v30, 0xbf5db3d7, v47
	v_fmac_f32_e32 v47, 0x3f5db3d7, v30
	;; [unrolled: 2-line block ×4, first 2 shown]
	v_add_f32_e32 v90, v1, v17
	v_dual_fmamk_f32 v48, v56, 0xbf5db3d7, v42 :: v_dual_sub_f32 v93, v17, v19
	v_add_f32_e32 v17, v17, v19
	v_add_f32_e32 v87, v13, v15
	v_lshlrev_b64_e32 v[62:63], 3, v[36:37]
	v_lshlrev_b32_e32 v36, 1, v92
	v_sub_f32_e32 v12, v12, v16
	v_dual_add_f32 v102, v2, v21 :: v_dual_sub_f32 v21, v21, v23
	v_fmac_f32_e32 v41, -0.5, v101
	v_fma_f32 v17, -0.5, v17, v1
	v_dual_add_f32 v86, v59, v13 :: v_dual_sub_f32 v13, v13, v15
	v_fmac_f32_e32 v43, -0.5, v85
	v_dual_fmac_f32 v59, -0.5, v87 :: v_dual_fmac_f32 v2, -0.5, v104
	v_fma_f32 v1, -0.5, v106, v38
	v_fmac_f32_e32 v9, -0.5, v50
	v_lshlrev_b64_e32 v[36:37], 3, v[36:37]
	v_fmamk_f32 v53, v12, 0xbf5db3d7, v17
	v_fmac_f32_e32 v17, 0x3f5db3d7, v12
	v_fmamk_f32 v12, v21, 0x3f5db3d7, v41
	v_fmamk_f32 v38, v51, 0xbf5db3d7, v61
	v_fmac_f32_e32 v61, 0x3f5db3d7, v51
	v_add_f32_e32 v11, v82, v11
	v_fmamk_f32 v49, v13, 0x3f5db3d7, v43
	v_fmac_f32_e32 v43, 0xbf5db3d7, v13
	v_fmamk_f32 v13, v10, 0xbf5db3d7, v59
	v_fmac_f32_e32 v59, 0x3f5db3d7, v10
	;; [unrolled: 2-line block ×3, first 2 shown]
	v_fmac_f32_e32 v41, 0xbf5db3d7, v21
	v_fmamk_f32 v21, v14, 0xbf5db3d7, v2
	v_fmac_f32_e32 v2, 0x3f5db3d7, v14
	v_fmamk_f32 v14, v103, 0x3f5db3d7, v1
	v_fmac_f32_e32 v1, 0xbf5db3d7, v103
	v_mul_u32_u24_e32 v99, 0xe38f, v99
	v_add_co_u32 v62, s0, s4, v62
	s_barrier_signal -1
	s_barrier_wait -1
	global_inv scope:SCOPE_SE
	v_add_f32_e32 v52, v83, v55
	v_dual_add_f32 v15, v86, v15 :: v_dual_add_f32 v16, v88, v16
	v_add_f32_e32 v19, v90, v19
	v_dual_add_f32 v23, v102, v23 :: v_dual_add_f32 v4, v105, v4
	v_fmac_f32_e32 v42, 0x3f5db3d7, v56
	v_fmac_f32_e32 v39, 0xbf5db3d7, v29
	ds_store_2addr_b32 v118, v18, v25 offset1:24
	ds_store_b32 v118, v7 offset:192
	ds_store_2addr_b32 v119, v0, v30 offset1:24
	ds_store_b32 v119, v45 offset:192
	;; [unrolled: 2-line block ×8, first 2 shown]
	global_wb scope:SCOPE_SE
	s_wait_dscnt 0x0
	s_barrier_signal -1
	s_barrier_wait -1
	global_inv scope:SCOPE_SE
	ds_load_2addr_b32 v[28:29], v65 offset1:63
	ds_load_2addr_b32 v[30:31], v75 offset0:120 offset1:183
	ds_load_2addr_b32 v[50:51], v69 offset0:112 offset1:175
	;; [unrolled: 1-line block ×11, first 2 shown]
	v_add_f32_e32 v27, v81, v27
	v_fmamk_f32 v55, v6, 0xbf5db3d7, v9
	v_fmac_f32_e32 v9, 0x3f5db3d7, v6
	global_wb scope:SCOPE_SE
	s_wait_dscnt 0x0
	s_barrier_signal -1
	s_barrier_wait -1
	global_inv scope:SCOPE_SE
	ds_store_2addr_b32 v118, v26, v24 offset1:24
	ds_store_b32 v118, v47 offset:192
	ds_store_2addr_b32 v119, v3, v38 offset1:24
	ds_store_b32 v119, v61 offset:192
	ds_store_2addr_b32 v120, v11, v48 offset1:24
	ds_store_b32 v120, v42 offset:192
	ds_store_2addr_b32 v95, v15, v13 offset1:24
	ds_store_b32 v95, v59 offset:192
	ds_store_2addr_b32 v121, v19, v53 offset1:24
	ds_store_b32 v121, v17 offset:192
	ds_store_2addr_b32 v97, v23, v21 offset1:24
	ds_store_b32 v97, v2 offset:192
	ds_store_2addr_b32 v100, v27, v54 offset1:24
	ds_store_b32 v100, v8 offset:192
	ds_store_2addr_b32 v122, v46, v55 offset1:24
	ds_store_b32 v122, v9 offset:192
	v_mul_lo_u16 v2, 0x48, v91
	s_wait_alu 0xf1ff
	v_add_co_ci_u32_e64 v63, s0, s5, v63, s0
	v_add_co_u32 v36, s0, s4, v36
	s_wait_alu 0xf1ff
	v_add_co_ci_u32_e64 v37, s0, s5, v37, s0
	v_sub_nc_u16 v16, v77, v98
	v_lshrrev_b32_e32 v20, 22, v99
	v_sub_nc_u16 v2, v78, v2
	global_wb scope:SCOPE_SE
	s_wait_dscnt 0x0
	s_barrier_signal -1
	s_barrier_wait -1
	global_inv scope:SCOPE_SE
	s_clause 0x1
	global_load_b128 v[4:7], v[62:63], off offset:560
	global_load_b128 v[8:11], v[36:37], off offset:560
	v_and_b32_e32 v36, 0xffff, v16
	v_mul_lo_u16 v21, 0x48, v116
	v_mul_lo_u16 v20, 0x48, v20
	v_and_b32_e32 v2, 0xffff, v2
	v_and_b32_e32 v3, 0xff, v96
	v_lshlrev_b32_e32 v22, 4, v36
	v_sub_nc_u16 v24, v76, v21
	v_sub_nc_u16 v25, v79, v20
	v_lshlrev_b32_e32 v26, 4, v2
	v_lshlrev_b32_e32 v12, 4, v117
	global_load_b128 v[20:23], v22, s[4:5] offset:560
	v_and_b32_e32 v37, 0xffff, v24
	v_and_b32_e32 v38, 0xffff, v25
	global_load_b128 v[24:27], v26, s[4:5] offset:560
	v_lshlrev_b32_e32 v17, 4, v3
	global_load_b128 v[12:15], v12, s[4:5] offset:560
	v_lshlrev_b32_e32 v39, 4, v37
	v_lshlrev_b32_e32 v40, 4, v38
	v_cmp_lt_u32_e64 s0, 8, v32
	s_clause 0x2
	global_load_b128 v[16:19], v17, s[4:5] offset:560
	global_load_b128 v[93:96], v39, s[4:5] offset:560
	;; [unrolled: 1-line block ×3, first 2 shown]
	v_lshlrev_b32_e32 v40, 2, v92
	s_wait_alu 0xf1ff
	v_cndmask_b32_e64 v39, 0, 0x360, s0
	ds_load_2addr_b32 v[52:53], v75 offset0:120 offset1:183
	ds_load_2addr_b32 v[60:61], v69 offset0:112 offset1:175
	v_mul_u32_u24_e32 v41, 0x360, v115
	v_mul_u32_u24_e32 v44, 0x360, v91
	v_add3_u32 v42, 0, v39, v40
	v_and_b32_e32 v39, 0xffff, v113
	v_and_b32_e32 v40, 0xffff, v114
	v_mul_u32_u24_e32 v45, 0x360, v116
	v_lshlrev_b32_e32 v46, 2, v117
	v_lshlrev_b32_e32 v3, 2, v3
	v_mul_u32_u24_e32 v39, 0x360, v39
	v_mul_u32_u24_e32 v40, 0x360, v40
	v_lshlrev_b32_e32 v36, 2, v36
	v_lshlrev_b32_e32 v2, 2, v2
	;; [unrolled: 1-line block ×3, first 2 shown]
	v_lshl_add_u32 v43, v38, 2, 0
	v_add3_u32 v49, 0, v39, v46
	v_add3_u32 v46, 0, v40, v3
	;; [unrolled: 1-line block ×5, first 2 shown]
	ds_load_2addr_b32 v[62:63], v72 offset0:118 offset1:181
	ds_load_2addr_b32 v[76:77], v70 offset0:110 offset1:173
	ds_load_2addr_b32 v[36:37], v65 offset1:63
	ds_load_2addr_b32 v[40:41], v65 offset0:126 offset1:189
	ds_load_2addr_b32 v[38:39], v73 offset0:124 offset1:187
	;; [unrolled: 1-line block ×7, first 2 shown]
	v_add_nc_u32_e32 v45, 0x1400, v43
	global_wb scope:SCOPE_SE
	s_wait_loadcnt_dscnt 0x0
	s_barrier_signal -1
	s_barrier_wait -1
	global_inv scope:SCOPE_SE
	v_cmp_gt_u32_e64 s0, 27, v32
	v_mul_f32_e32 v54, v52, v5
	v_mul_f32_e32 v81, v31, v9
	v_dual_mul_f32 v82, v30, v5 :: v_dual_mul_f32 v5, v60, v7
	v_dual_mul_f32 v74, v50, v7 :: v_dual_mul_f32 v7, v53, v9
	s_delay_alu instid0(VALU_DEP_4) | instskip(NEXT) | instid1(VALU_DEP_4)
	v_fma_f32 v88, v30, v4, -v54
	v_fmac_f32_e32 v81, v53, v8
	s_delay_alu instid0(VALU_DEP_4)
	v_fmac_f32_e32 v82, v52, v4
	v_fma_f32 v89, v50, v6, -v5
	v_fmac_f32_e32 v74, v60, v6
	v_fma_f32 v85, v31, v8, -v7
	v_mul_f32_e32 v4, v91, v21
	v_mul_f32_e32 v55, v105, v21
	;; [unrolled: 1-line block ×3, first 2 shown]
	v_dual_mul_f32 v53, v106, v25 :: v_dual_mul_f32 v54, v108, v27
	v_dual_mul_f32 v73, v57, v13 :: v_dual_mul_f32 v56, v86, v15
	v_mul_f32_e32 v6, v92, v25
	s_delay_alu instid0(VALU_DEP_3) | instskip(SKIP_2) | instid1(VALU_DEP_3)
	v_dual_fmac_f32 v53, v92, v24 :: v_dual_fmac_f32 v54, v114, v26
	v_dual_mul_f32 v59, v58, v17 :: v_dual_mul_f32 v60, v87, v19
	v_dual_mul_f32 v7, v114, v27 :: v_dual_mul_f32 v8, v115, v94
	v_sub_f32_e32 v21, v53, v54
	v_mul_f32_e32 v9, v61, v11
	v_mul_f32_e32 v75, v51, v11
	;; [unrolled: 1-line block ×6, first 2 shown]
	v_fma_f32 v90, v51, v10, -v9
	v_mul_f32_e32 v9, v117, v96
	v_fmac_f32_e32 v75, v61, v10
	v_dual_mul_f32 v10, v116, v98 :: v_dual_mul_f32 v19, v118, v100
	v_dual_mul_f32 v52, v107, v23 :: v_dual_mul_f32 v31, v109, v94
	v_mul_f32_e32 v30, v111, v96
	v_fma_f32 v83, v57, v12, -v11
	v_fma_f32 v86, v86, v14, -v13
	v_fmac_f32_e32 v56, v76, v14
	v_fma_f32 v84, v58, v16, -v15
	v_fma_f32 v87, v87, v18, -v17
	v_fmac_f32_e32 v60, v77, v18
	v_fma_f32 v77, v105, v20, -v4
	v_fma_f32 v79, v107, v22, -v5
	;; [unrolled: 1-line block ×6, first 2 shown]
	v_dual_mul_f32 v50, v110, v98 :: v_dual_mul_f32 v51, v112, v100
	v_fmac_f32_e32 v59, v63, v16
	v_fma_f32 v58, v110, v97, -v10
	v_fma_f32 v63, v112, v99, -v19
	v_dual_add_f32 v5, v88, v89 :: v_dual_add_f32 v8, v85, v90
	v_fmac_f32_e32 v73, v62, v12
	v_dual_fmac_f32 v55, v91, v20 :: v_dual_fmac_f32 v52, v113, v22
	v_dual_fmac_f32 v31, v115, v93 :: v_dual_fmac_f32 v30, v117, v95
	v_dual_add_f32 v11, v83, v86 :: v_dual_add_f32 v14, v84, v87
	v_dual_add_f32 v16, v103, v77 :: v_dual_add_f32 v17, v77, v79
	;; [unrolled: 1-line block ×3, first 2 shown]
	v_dual_fmac_f32 v50, v116, v97 :: v_dual_fmac_f32 v51, v118, v99
	v_add_f32_e32 v4, v28, v88
	v_sub_f32_e32 v6, v82, v74
	v_add_f32_e32 v26, v58, v63
	v_fma_f32 v28, -0.5, v5, v28
	v_add_f32_e32 v7, v29, v85
	v_sub_f32_e32 v9, v81, v75
	v_dual_fmac_f32 v29, -0.5, v8 :: v_dual_add_f32 v10, v101, v83
	v_sub_f32_e32 v12, v73, v56
	v_add_f32_e32 v13, v102, v84
	v_sub_f32_e32 v15, v59, v60
	v_sub_f32_e32 v18, v55, v52
	v_add_f32_e32 v19, v104, v76
	v_add_f32_e32 v22, v0, v57
	v_sub_f32_e32 v24, v31, v30
	v_fma_f32 v11, -0.5, v11, v101
	v_fmac_f32_e32 v102, -0.5, v14
	v_add_f32_e32 v14, v16, v79
	v_fma_f32 v16, -0.5, v17, v103
	v_fmac_f32_e32 v104, -0.5, v20
	v_fma_f32 v0, -0.5, v23, v0
	v_add_f32_e32 v25, v1, v58
	v_dual_sub_f32 v27, v50, v51 :: v_dual_add_f32 v8, v4, v89
	v_dual_fmac_f32 v1, -0.5, v26 :: v_dual_fmamk_f32 v20, v6, 0x3f5db3d7, v28
	v_fmac_f32_e32 v28, 0xbf5db3d7, v6
	v_dual_add_f32 v7, v7, v90 :: v_dual_fmamk_f32 v6, v9, 0x3f5db3d7, v29
	v_dual_fmac_f32 v29, 0xbf5db3d7, v9 :: v_dual_add_f32 v10, v10, v86
	v_add_f32_e32 v13, v13, v87
	v_add_f32_e32 v17, v19, v78
	v_add_f32_e32 v19, v22, v61
	v_fmamk_f32 v9, v12, 0x3f5db3d7, v11
	v_fmac_f32_e32 v11, 0xbf5db3d7, v12
	v_fmamk_f32 v12, v15, 0x3f5db3d7, v102
	v_fmac_f32_e32 v102, 0xbf5db3d7, v15
	;; [unrolled: 2-line block ×5, first 2 shown]
	v_dual_add_f32 v4, v25, v63 :: v_dual_fmamk_f32 v5, v27, 0x3f5db3d7, v1
	v_fmac_f32_e32 v1, 0xbf5db3d7, v27
	ds_store_2addr_b32 v65, v8, v20 offset1:72
	ds_store_b32 v65, v28 offset:576
	ds_store_2addr_b32 v42, v7, v6 offset1:72
	ds_store_b32 v42, v29 offset:576
	ds_store_2addr_b32 v49, v10, v9 offset1:72
	ds_store_b32 v49, v11 offset:576
	ds_store_2addr_b32 v46, v13, v12 offset1:72
	ds_store_b32 v46, v102 offset:576
	ds_store_2addr_b32 v47, v14, v15 offset1:72
	ds_store_b32 v47, v16 offset:576
	ds_store_2addr_b32 v48, v17, v18 offset1:72
	ds_store_b32 v48, v104 offset:576
	ds_store_2addr_b32 v44, v19, v21 offset1:72
	ds_store_b32 v44, v0 offset:576
	ds_store_2addr_b32 v45, v4, v5 offset0:16 offset1:88
	ds_store_b32 v43, v1 offset:5760
	global_wb scope:SCOPE_SE
	s_wait_dscnt 0x0
	s_barrier_signal -1
	s_barrier_wait -1
	global_inv scope:SCOPE_SE
	ds_load_2addr_b32 v[8:9], v65 offset1:63
	ds_load_2addr_b32 v[10:11], v65 offset0:126 offset1:216
	ds_load_2addr_b32 v[12:13], v68 offset0:176 offset1:239
	;; [unrolled: 1-line block ×9, first 2 shown]
	ds_load_b32 v62, v65 offset:5688
                                        ; implicit-def: $vgpr6
                                        ; implicit-def: $vgpr0
                                        ; implicit-def: $vgpr23
	s_and_saveexec_b32 s1, s0
	s_cbranch_execz .LBB0_13
; %bb.12:
	v_add_nc_u32_e32 v0, 0x980, v65
	v_add_nc_u32_e32 v1, 0x280, v65
	ds_load_2addr_b32 v[22:23], v0 offset0:13 offset1:229
	ds_load_2addr_b32 v[4:5], v1 offset0:29 offset1:245
	;; [unrolled: 1-line block ×3, first 2 shown]
	ds_load_b32 v0, v65 offset:5940
	s_wait_dscnt 0x3
	v_mov_b32_e32 v1, v22
.LBB0_13:
	s_wait_alu 0xfffe
	s_or_b32 exec_lo, exec_lo, s1
	v_add_f32_e32 v22, v82, v74
	v_dual_sub_f32 v88, v88, v89 :: v_dual_add_f32 v89, v81, v75
	v_add_f32_e32 v82, v36, v82
	global_wb scope:SCOPE_SE
	s_wait_dscnt 0x0
	v_fma_f32 v22, -0.5, v22, v36
	v_add_f32_e32 v36, v37, v81
	v_sub_f32_e32 v81, v85, v90
	v_dual_fmac_f32 v37, -0.5, v89 :: v_dual_add_f32 v74, v82, v74
	s_delay_alu instid0(VALU_DEP_4) | instskip(SKIP_2) | instid1(VALU_DEP_3)
	v_fmamk_f32 v82, v88, 0xbf5db3d7, v22
	v_fmac_f32_e32 v22, 0x3f5db3d7, v88
	s_barrier_signal -1
	v_fmamk_f32 v85, v81, 0xbf5db3d7, v37
	v_fmac_f32_e32 v37, 0x3f5db3d7, v81
	v_dual_add_f32 v81, v59, v60 :: v_dual_add_f32 v36, v36, v75
	v_add_f32_e32 v75, v73, v56
	v_add_f32_e32 v73, v40, v73
	;; [unrolled: 1-line block ×3, first 2 shown]
	s_barrier_wait -1
	global_inv scope:SCOPE_SE
	v_fma_f32 v40, -0.5, v75, v40
	v_dual_sub_f32 v75, v83, v86 :: v_dual_add_f32 v56, v73, v56
	v_fmac_f32_e32 v41, -0.5, v81
	v_add_f32_e32 v59, v59, v60
	v_dual_add_f32 v60, v55, v52 :: v_dual_add_f32 v55, v38, v55
	v_sub_f32_e32 v73, v84, v87
	v_fmamk_f32 v81, v75, 0xbf5db3d7, v40
	v_fmac_f32_e32 v40, 0x3f5db3d7, v75
	s_delay_alu instid0(VALU_DEP_4)
	v_fma_f32 v38, -0.5, v60, v38
	v_sub_f32_e32 v60, v77, v79
	v_dual_add_f32 v52, v55, v52 :: v_dual_fmamk_f32 v75, v73, 0xbf5db3d7, v41
	v_fmac_f32_e32 v41, 0x3f5db3d7, v73
	v_sub_f32_e32 v55, v76, v78
	v_add_f32_e32 v73, v53, v54
	v_add_f32_e32 v53, v39, v53
	s_delay_alu instid0(VALU_DEP_1) | instskip(SKIP_1) | instid1(VALU_DEP_1)
	v_add_f32_e32 v53, v53, v54
	v_dual_add_f32 v54, v31, v30 :: v_dual_add_f32 v31, v2, v31
	v_fma_f32 v2, -0.5, v54, v2
	v_sub_f32_e32 v54, v57, v61
	v_fmac_f32_e32 v39, -0.5, v73
	v_fmamk_f32 v73, v60, 0xbf5db3d7, v38
	v_dual_fmac_f32 v38, 0x3f5db3d7, v60 :: v_dual_add_f32 v57, v31, v30
	s_delay_alu instid0(VALU_DEP_3) | instskip(SKIP_2) | instid1(VALU_DEP_1)
	v_fmamk_f32 v60, v55, 0xbf5db3d7, v39
	v_fmac_f32_e32 v39, 0x3f5db3d7, v55
	v_dual_add_f32 v55, v50, v51 :: v_dual_add_f32 v50, v3, v50
	v_fmac_f32_e32 v3, -0.5, v55
	v_sub_f32_e32 v55, v58, v63
	v_fmamk_f32 v58, v54, 0xbf5db3d7, v2
	v_fmac_f32_e32 v2, 0x3f5db3d7, v54
	s_delay_alu instid0(VALU_DEP_3)
	v_dual_add_f32 v30, v50, v51 :: v_dual_fmamk_f32 v31, v55, 0xbf5db3d7, v3
	v_fmac_f32_e32 v3, 0x3f5db3d7, v55
	ds_store_2addr_b32 v65, v74, v82 offset1:72
	ds_store_b32 v65, v22 offset:576
	ds_store_2addr_b32 v42, v36, v85 offset1:72
	ds_store_b32 v42, v37 offset:576
	;; [unrolled: 2-line block ×7, first 2 shown]
	ds_store_2addr_b32 v45, v30, v31 offset0:16 offset1:88
	ds_store_b32 v43, v3 offset:5760
	global_wb scope:SCOPE_SE
	s_wait_dscnt 0x0
	s_barrier_signal -1
	s_barrier_wait -1
	global_inv scope:SCOPE_SE
	ds_load_2addr_b32 v[40:41], v65 offset1:63
	ds_load_2addr_b32 v[42:43], v65 offset0:126 offset1:216
	ds_load_2addr_b32 v[44:45], v68 offset0:176 offset1:239
	;; [unrolled: 1-line block ×9, first 2 shown]
	ds_load_b32 v22, v65 offset:5688
                                        ; implicit-def: $vgpr36
                                        ; implicit-def: $vgpr2
                                        ; implicit-def: $vgpr39
	s_and_saveexec_b32 s1, s0
	s_cbranch_execz .LBB0_15
; %bb.14:
	v_add_nc_u32_e32 v2, 0x980, v65
	v_add_nc_u32_e32 v3, 0x280, v65
	v_add_nc_u32_e32 v36, 0x1000, v65
	ds_load_2addr_b32 v[38:39], v2 offset0:13 offset1:229
	ds_load_2addr_b32 v[30:31], v3 offset0:29 offset1:245
	ds_load_2addr_b32 v[36:37], v36 offset0:29 offset1:245
	ds_load_b32 v2, v65 offset:5940
	s_wait_dscnt 0x3
	v_mov_b32_e32 v3, v38
.LBB0_15:
	s_wait_alu 0xfffe
	s_or_b32 exec_lo, exec_lo, s1
	s_and_saveexec_b32 s1, vcc_lo
	s_cbranch_execz .LBB0_18
; %bb.16:
	v_mul_u32_u24_e32 v38, 6, v33
	v_mul_u32_u24_e32 v60, 6, v32
	s_delay_alu instid0(VALU_DEP_2)
	v_dual_mov_b32 v61, 0 :: v_dual_lshlrev_b32 v38, 3, v38
	s_clause 0x2
	global_load_b128 v[65:68], v38, s[4:5] offset:1712
	global_load_b128 v[69:72], v38, s[4:5] offset:1744
	;; [unrolled: 1-line block ×3, first 2 shown]
	v_lshlrev_b32_e32 v38, 3, v60
	v_mad_u32_u24 v60, v33, 6, 0xfffffe86
	v_mov_b32_e32 v33, v61
	s_clause 0x2
	global_load_b128 v[81:84], v38, s[4:5] offset:1712
	global_load_b128 v[85:88], v38, s[4:5] offset:1744
	;; [unrolled: 1-line block ×3, first 2 shown]
	v_lshlrev_b64_e32 v[77:78], 3, v[60:61]
	v_mul_hi_u32 v38, 0x97b425f, v80
	s_delay_alu instid0(VALU_DEP_2) | instskip(SKIP_1) | instid1(VALU_DEP_3)
	v_add_co_u32 v77, vcc_lo, s4, v77
	s_wait_alu 0xfffd
	v_add_co_ci_u32_e32 v78, vcc_lo, s5, v78, vcc_lo
	s_delay_alu instid0(VALU_DEP_3)
	v_mul_u32_u24_e32 v60, 0x510, v38
	s_clause 0x2
	global_load_b128 v[93:96], v[77:78], off offset:1712
	global_load_b128 v[97:100], v[77:78], off offset:1744
	;; [unrolled: 1-line block ×3, first 2 shown]
	v_lshlrev_b64_e32 v[77:78], 3, v[32:33]
	v_add_co_u32 v33, vcc_lo, s8, v34
	s_wait_alu 0xfffd
	v_add_co_ci_u32_e32 v34, vcc_lo, s9, v35, vcc_lo
	v_lshlrev_b64_e32 v[79:80], 3, v[60:61]
	s_delay_alu instid0(VALU_DEP_3) | instskip(SKIP_1) | instid1(VALU_DEP_3)
	v_add_co_u32 v33, vcc_lo, v33, v77
	s_wait_alu 0xfffd
	v_add_co_ci_u32_e32 v34, vcc_lo, v34, v78, vcc_lo
	s_delay_alu instid0(VALU_DEP_2) | instskip(SKIP_1) | instid1(VALU_DEP_2)
	v_add_co_u32 v77, vcc_lo, v33, v79
	s_wait_alu 0xfffd
	v_add_co_ci_u32_e32 v78, vcc_lo, v34, v80, vcc_lo
	s_wait_loadcnt_dscnt 0x700
	v_dual_mul_f32 v35, v51, v66 :: v_dual_mul_f32 v38, v22, v72
	s_wait_loadcnt 0x6
	v_dual_mul_f32 v60, v58, v76 :: v_dual_mul_f32 v63, v53, v74
	v_dual_mul_f32 v79, v56, v68 :: v_dual_mul_f32 v80, v49, v70
	s_wait_loadcnt 0x5
	v_dual_mul_f32 v72, v62, v72 :: v_dual_mul_f32 v105, v43, v82
	s_wait_loadcnt 0x3
	v_dual_mul_f32 v66, v25, v66 :: v_dual_mul_f32 v107, v46, v92
	v_dual_mul_f32 v74, v19, v74 :: v_dual_mul_f32 v109, v44, v84
	v_mul_f32_e32 v76, v28, v76
	v_mul_f32_e32 v70, v17, v70
	;; [unrolled: 1-line block ×4, first 2 shown]
	v_fma_f32 v25, v25, v65, -v35
	v_fma_f32 v35, v62, v71, -v38
	v_mul_f32_e32 v82, v11, v82
	v_fma_f32 v28, v28, v75, -v60
	v_fma_f32 v19, v19, v73, -v63
	;; [unrolled: 1-line block ×4, first 2 shown]
	v_mul_f32_e32 v86, v29, v86
	v_mul_f32_e32 v106, v54, v88
	;; [unrolled: 1-line block ×3, first 2 shown]
	v_fma_f32 v11, v11, v81, -v105
	v_sub_f32_e32 v60, v28, v19
	v_sub_f32_e32 v62, v26, v17
	v_add_f32_e32 v17, v26, v17
	v_dual_fmac_f32 v86, v59, v85 :: v_dual_sub_f32 v59, v25, v35
	v_dual_add_f32 v25, v25, v35 :: v_dual_fmac_f32 v82, v43, v81
	s_wait_loadcnt 0x0
	v_dual_mul_f32 v43, v47, v104 :: v_dual_fmac_f32 v70, v49, v69
	v_mul_f32_e32 v49, v48, v98
	v_fmac_f32_e32 v68, v56, v67
	v_fmac_f32_e32 v66, v51, v65
	;; [unrolled: 1-line block ×3, first 2 shown]
	v_mul_f32_e32 v92, v14, v92
	v_mul_f32_e32 v51, v21, v100
	v_add_f32_e32 v67, v68, v70
	v_dual_sub_f32 v35, v68, v70 :: v_dual_fmac_f32 v72, v22, v71
	v_mul_f32_e32 v108, v57, v90
	v_dual_mul_f32 v90, v27, v90 :: v_dual_add_f32 v19, v28, v19
	v_dual_mul_f32 v84, v12, v84 :: v_dual_fmac_f32 v51, v55, v99
	s_delay_alu instid0(VALU_DEP_4) | instskip(NEXT) | instid1(VALU_DEP_4)
	v_add_f32_e32 v63, v66, v72
	v_fma_f32 v22, v27, v89, -v108
	v_fma_f32 v27, v29, v85, -v110
	v_dual_fmac_f32 v90, v57, v89 :: v_dual_mul_f32 v29, v50, v94
	v_mul_f32_e32 v57, v16, v98
	v_fma_f32 v12, v12, v83, -v109
	v_dual_fmac_f32 v92, v46, v91 :: v_dual_mul_f32 v53, v24, v94
	s_delay_alu instid0(VALU_DEP_4) | instskip(NEXT) | instid1(VALU_DEP_4)
	v_fma_f32 v24, v24, v93, -v29
	v_fmac_f32_e32 v57, v48, v97
	v_dual_sub_f32 v29, v59, v60 :: v_dual_fmac_f32 v76, v58, v75
	s_delay_alu instid0(VALU_DEP_4) | instskip(SKIP_2) | instid1(VALU_DEP_4)
	v_add_f32_e32 v71, v92, v90
	v_fma_f32 v14, v14, v91, -v107
	v_dual_fmac_f32 v84, v44, v83 :: v_dual_fmac_f32 v53, v50, v93
	v_add_f32_e32 v65, v76, v74
	v_dual_sub_f32 v69, v12, v27 :: v_dual_sub_f32 v26, v66, v72
	v_mul_f32_e32 v58, v13, v96
	v_fma_f32 v20, v20, v87, -v106
	v_mul_f32_e32 v38, v55, v100
	v_mul_f32_e32 v44, v52, v102
	;; [unrolled: 1-line block ×3, first 2 shown]
	v_add_f32_e32 v12, v12, v27
	v_fmac_f32_e32 v58, v45, v95
	v_sub_f32_e32 v45, v65, v67
	v_dual_fmac_f32 v88, v54, v87 :: v_dual_sub_f32 v27, v84, v86
	v_sub_f32_e32 v68, v14, v22
	v_mul_f32_e32 v56, v15, v104
	v_mul_f32_e32 v54, v18, v102
	v_sub_f32_e32 v28, v76, v74
	v_fma_f32 v16, v16, v97, -v49
	v_add_f32_e32 v49, v25, v17
	v_fma_f32 v18, v18, v101, -v44
	v_sub_f32_e32 v44, v63, v65
	v_fmac_f32_e32 v56, v47, v103
	v_sub_f32_e32 v47, v25, v19
	v_fma_f32 v21, v21, v99, -v38
	v_sub_f32_e32 v66, v11, v20
	v_add_f32_e32 v14, v14, v22
	v_sub_f32_e32 v22, v92, v90
	v_fma_f32 v15, v15, v103, -v43
	v_sub_f32_e32 v48, v19, v17
	v_dual_sub_f32 v50, v26, v28 :: v_dual_add_f32 v19, v19, v49
	v_sub_f32_e32 v17, v17, v25
	v_fmac_f32_e32 v54, v52, v101
	v_dual_sub_f32 v52, v28, v35 :: v_dual_sub_f32 v25, v35, v26
	v_sub_f32_e32 v80, v22, v27
	v_add_f32_e32 v28, v28, v35
	v_sub_f32_e32 v81, v24, v21
	v_sub_f32_e32 v35, v66, v68
	v_dual_add_f32 v43, v60, v62 :: v_dual_add_f32 v70, v82, v88
	v_add_f32_e32 v21, v24, v21
	v_dual_add_f32 v72, v84, v86 :: v_dual_sub_f32 v75, v14, v12
	v_add_f32_e32 v11, v11, v20
	v_dual_sub_f32 v20, v82, v88 :: v_dual_add_f32 v83, v56, v54
	s_delay_alu instid0(VALU_DEP_3) | instskip(SKIP_1) | instid1(VALU_DEP_4)
	v_add_f32_e32 v73, v70, v72
	v_add_f32_e32 v43, v59, v43
	v_sub_f32_e32 v74, v11, v14
	s_delay_alu instid0(VALU_DEP_4)
	v_sub_f32_e32 v79, v20, v22
	v_dual_sub_f32 v38, v60, v62 :: v_dual_sub_f32 v55, v62, v59
	v_fma_f32 v13, v13, v95, -v46
	v_add_f32_e32 v59, v71, v73
	v_dual_add_f32 v46, v63, v67 :: v_dual_mul_f32 v49, 0xbf08b237, v52
	v_sub_f32_e32 v60, v67, v63
	v_dual_sub_f32 v67, v70, v71 :: v_dual_add_f32 v76, v11, v12
	v_dual_add_f32 v22, v22, v27 :: v_dual_sub_f32 v27, v27, v20
	v_sub_f32_e32 v62, v68, v69
	v_dual_add_f32 v63, v68, v69 :: v_dual_add_f32 v82, v53, v51
	v_dual_sub_f32 v68, v71, v72 :: v_dual_mul_f32 v45, 0x3d64c772, v45
	v_add_f32_e32 v84, v58, v57
	v_sub_f32_e32 v24, v58, v57
	v_sub_f32_e32 v70, v72, v70
	v_add_f32_e32 v46, v65, v46
	v_dual_sub_f32 v72, v12, v11 :: v_dual_sub_f32 v11, v15, v18
	v_dual_sub_f32 v12, v13, v16 :: v_dual_add_f32 v15, v15, v18
	v_dual_add_f32 v13, v13, v16 :: v_dual_add_f32 v10, v10, v19
	v_sub_f32_e32 v69, v69, v66
	v_mul_f32_e32 v57, 0x3f4a47b2, v67
	v_mul_f32_e32 v48, 0x3d64c772, v48
	v_sub_f32_e32 v71, v11, v12
	v_mul_f32_e32 v65, 0xbf08b237, v80
	v_dual_add_f32 v26, v26, v28 :: v_dual_fmamk_f32 v19, v19, 0xbf955555, v10
	v_dual_sub_f32 v85, v21, v15 :: v_dual_sub_f32 v86, v15, v13
	v_dual_add_f32 v87, v21, v13 :: v_dual_mul_f32 v38, 0xbf08b237, v38
	v_dual_sub_f32 v21, v13, v21 :: v_dual_add_f32 v14, v14, v76
	v_dual_add_f32 v13, v40, v59 :: v_dual_sub_f32 v76, v83, v84
	v_sub_f32_e32 v16, v53, v51
	v_mul_f32_e32 v53, 0x3f4a47b2, v47
	v_dual_mul_f32 v51, 0x3f4a47b2, v44 :: v_dual_sub_f32 v18, v56, v54
	v_add_f32_e32 v56, v66, v63
	v_mul_f32_e32 v63, 0x3d64c772, v75
	v_dual_sub_f32 v75, v82, v83 :: v_dual_mul_f32 v58, 0x3d64c772, v68
	v_dual_sub_f32 v68, v81, v11 :: v_dual_add_f32 v73, v11, v12
	v_dual_add_f32 v11, v42, v46 :: v_dual_fmamk_f32 v42, v47, 0x3f4a47b2, v48
	v_mul_f32_e32 v52, 0x3f5ff5aa, v25
	v_fmamk_f32 v47, v50, 0x3eae86e6, v49
	v_fma_f32 v25, 0x3f5ff5aa, v25, -v49
	v_dual_fmamk_f32 v49, v67, 0x3f4a47b2, v58 :: v_dual_add_f32 v80, v82, v84
	v_sub_f32_e32 v82, v84, v82
	v_fmamk_f32 v84, v29, 0x3eae86e6, v38
	v_fmac_f32_e32 v47, 0x3ee1c552, v26
	v_fmac_f32_e32 v25, 0x3ee1c552, v26
	v_fmamk_f32 v40, v74, 0x3f4a47b2, v63
	v_mul_f32_e32 v67, 0x3d64c772, v86
	v_fmac_f32_e32 v84, 0x3ee1c552, v43
	v_dual_mul_f32 v28, 0x3f5ff5aa, v55 :: v_dual_sub_f32 v89, v18, v24
	v_fma_f32 v50, 0xbeae86e6, v50, -v52
	s_delay_alu instid0(VALU_DEP_2)
	v_fma_f32 v28, 0xbeae86e6, v29, -v28
	v_fma_f32 v29, 0xbf3bfb3b, v60, -v51
	;; [unrolled: 1-line block ×3, first 2 shown]
	v_mul_f32_e32 v54, 0xbf08b237, v62
	v_fma_f32 v17, 0x3f3bfb3b, v17, -v48
	v_fmac_f32_e32 v28, 0x3ee1c552, v43
	v_mul_f32_e32 v66, 0x3f5ff5aa, v27
	v_fmac_f32_e32 v50, 0x3ee1c552, v26
	v_fmamk_f32 v48, v35, 0x3eae86e6, v54
	v_fma_f32 v54, 0x3f5ff5aa, v69, -v54
	v_fmamk_f32 v26, v59, 0xbf955555, v13
	v_fma_f32 v53, 0xbeae86e6, v79, -v66
	s_delay_alu instid0(VALU_DEP_3)
	v_fmac_f32_e32 v54, 0x3ee1c552, v56
	v_fmamk_f32 v44, v44, 0x3f4a47b2, v45
	v_fma_f32 v45, 0x3f3bfb3b, v60, -v45
	v_add_f32_e32 v60, v81, v73
	v_sub_f32_e32 v90, v12, v81
	v_add_f32_e32 v12, v8, v14
	v_add_f32_e32 v20, v20, v22
	v_dual_mul_f32 v22, 0x3f5ff5aa, v69 :: v_dual_add_f32 v69, v15, v87
	v_fma_f32 v38, 0x3f5ff5aa, v55, -v38
	v_fma_f32 v8, 0xbf3bfb3b, v70, -v57
	;; [unrolled: 1-line block ×3, first 2 shown]
	s_delay_alu instid0(VALU_DEP_4)
	v_fma_f32 v22, 0xbeae86e6, v35, -v22
	v_fma_f32 v27, 0x3f3bfb3b, v72, -v63
	v_fmac_f32_e32 v38, 0x3ee1c552, v43
	v_fmamk_f32 v43, v14, 0xbf955555, v12
	v_mul_f32_e32 v62, 0x3f4a47b2, v74
	v_fmac_f32_e32 v22, 0x3ee1c552, v56
	v_fmamk_f32 v52, v79, 0x3eae86e6, v65
	v_add_f32_e32 v65, v83, v80
	v_fmac_f32_e32 v53, 0x3ee1c552, v20
	v_fma_f32 v35, 0xbf3bfb3b, v72, -v62
	v_fmamk_f32 v72, v85, 0x3f4a47b2, v67
	v_mul_f32_e32 v66, 0x3f4a47b2, v85
	v_fma_f32 v67, 0x3f3bfb3b, v21, -v67
	v_add_f32_e32 v15, v41, v65
	v_dual_add_f32 v41, v42, v19 :: v_dual_fmac_f32 v52, 0x3ee1c552, v20
	s_delay_alu instid0(VALU_DEP_4) | instskip(SKIP_4) | instid1(VALU_DEP_3)
	v_fma_f32 v66, 0xbf3bfb3b, v21, -v66
	v_add_f32_e32 v21, v17, v19
	v_fma_f32 v55, 0x3f3bfb3b, v70, -v58
	v_dual_fmac_f32 v57, 0x3ee1c552, v20 :: v_dual_add_f32 v14, v9, v69
	v_add_f32_e32 v35, v35, v43
	v_add_f32_e32 v42, v55, v26
	v_mul_f32_e32 v58, 0xbf08b237, v71
	s_delay_alu instid0(VALU_DEP_4) | instskip(SKIP_1) | instid1(VALU_DEP_3)
	v_fmamk_f32 v55, v69, 0xbf955555, v14
	v_mul_f32_e32 v70, 0xbf08b237, v89
	v_fmamk_f32 v59, v68, 0x3eae86e6, v58
	v_dual_mul_f32 v63, 0x3d64c772, v76 :: v_dual_sub_f32 v88, v16, v18
	v_add_f32_e32 v18, v18, v24
	v_sub_f32_e32 v24, v24, v16
	s_delay_alu instid0(VALU_DEP_4) | instskip(NEXT) | instid1(VALU_DEP_2)
	v_fmac_f32_e32 v59, 0x3ee1c552, v60
	v_mul_f32_e32 v71, 0x3f5ff5aa, v24
	v_fmamk_f32 v46, v46, 0xbf955555, v11
	s_delay_alu instid0(VALU_DEP_1) | instskip(SKIP_2) | instid1(VALU_DEP_1)
	v_dual_add_f32 v20, v29, v46 :: v_dual_add_f32 v29, v51, v19
	v_dual_fmamk_f32 v51, v65, 0xbf955555, v15 :: v_dual_add_f32 v16, v16, v18
	v_mul_f32_e32 v18, 0x3f5ff5aa, v90
	v_fma_f32 v68, 0xbeae86e6, v68, -v18
	v_dual_add_f32 v18, v45, v46 :: v_dual_add_f32 v45, v27, v43
	v_fmamk_f32 v73, v88, 0x3eae86e6, v70
	v_fma_f32 v71, 0xbeae86e6, v88, -v71
	s_delay_alu instid0(VALU_DEP_3) | instskip(SKIP_4) | instid1(VALU_DEP_4)
	v_sub_f32_e32 v17, v18, v38
	v_fma_f32 v70, 0x3f5ff5aa, v24, -v70
	v_add_f32_e32 v24, v44, v46
	v_dual_add_f32 v46, v49, v26 :: v_dual_fmac_f32 v73, 0x3ee1c552, v16
	v_fmac_f32_e32 v71, 0x3ee1c552, v16
	v_fmac_f32_e32 v70, 0x3ee1c552, v16
	v_dual_add_f32 v16, v25, v21 :: v_dual_add_f32 v19, v38, v18
	v_dual_sub_f32 v18, v21, v25 :: v_dual_sub_f32 v25, v24, v84
	v_fmac_f32_e32 v48, 0x3ee1c552, v56
	v_mul_f32_e32 v62, 0x3f4a47b2, v75
	v_fmamk_f32 v56, v75, 0x3f4a47b2, v63
	v_fma_f32 v63, 0x3f3bfb3b, v82, -v63
	v_add_f32_e32 v44, v8, v26
	v_add_f32_e32 v27, v48, v46
	;; [unrolled: 1-line block ×4, first 2 shown]
	v_fma_f32 v58, 0x3f5ff5aa, v90, -v58
	v_dual_add_f32 v9, v84, v24 :: v_dual_sub_f32 v8, v41, v47
	v_dual_add_f32 v24, v47, v41 :: v_dual_sub_f32 v47, v46, v48
	v_fma_f32 v62, 0xbf3bfb3b, v82, -v62
	global_store_b64 v[33:34], v[12:13], off
	v_dual_add_f32 v13, v28, v20 :: v_dual_sub_f32 v12, v29, v50
	v_dual_sub_f32 v21, v20, v28 :: v_dual_add_f32 v20, v50, v29
	v_dual_add_f32 v29, v22, v44 :: v_dual_sub_f32 v28, v35, v53
	v_dual_sub_f32 v41, v42, v54 :: v_dual_add_f32 v40, v57, v45
	v_dual_sub_f32 v42, v45, v57 :: v_dual_sub_f32 v45, v44, v22
	v_fmac_f32_e32 v58, 0x3ee1c552, v60
	v_add_f32_e32 v44, v53, v35
	v_add_f32_e32 v22, v56, v51
	;; [unrolled: 1-line block ×4, first 2 shown]
	v_fmac_f32_e32 v68, 0x3ee1c552, v60
	v_add_f32_e32 v38, v62, v51
	v_add_f32_e32 v56, v66, v55
	v_dual_add_f32 v57, v67, v55 :: v_dual_add_f32 v46, v52, v49
	v_dual_sub_f32 v26, v49, v52 :: v_dual_add_f32 v49, v59, v22
	v_sub_f32_e32 v53, v54, v58
	v_add_f32_e32 v55, v58, v54
	v_sub_f32_e32 v59, v22, v59
	v_add_f32_e32 v58, v73, v35
	v_dual_sub_f32 v48, v35, v73 :: v_dual_add_f32 v51, v68, v38
	v_sub_f32_e32 v50, v56, v71
	v_add_f32_e32 v52, v70, v57
	v_dual_sub_f32 v54, v57, v70 :: v_dual_sub_f32 v57, v38, v68
	v_add_f32_e32 v56, v71, v56
	s_clause 0x13
	global_store_b64 v[33:34], v[44:45], off offset:3456
	global_store_b64 v[33:34], v[40:41], off offset:6912
	;; [unrolled: 1-line block ×20, first 2 shown]
	s_and_b32 exec_lo, exec_lo, s0
	s_cbranch_execz .LBB0_18
; %bb.17:
	v_subrev_nc_u32_e32 v8, 27, v32
	s_delay_alu instid0(VALU_DEP_1) | instskip(NEXT) | instid1(VALU_DEP_1)
	v_cndmask_b32_e64 v8, v8, v64, s0
	v_mul_i32_i24_e32 v60, 6, v8
	s_delay_alu instid0(VALU_DEP_1) | instskip(NEXT) | instid1(VALU_DEP_1)
	v_lshlrev_b64_e32 v[8:9], 3, v[60:61]
	v_add_co_u32 v16, vcc_lo, s4, v8
	s_wait_alu 0xfffd
	s_delay_alu instid0(VALU_DEP_2)
	v_add_co_ci_u32_e32 v17, vcc_lo, s5, v9, vcc_lo
	s_clause 0x2
	global_load_b128 v[8:11], v[16:17], off offset:1712
	global_load_b128 v[12:15], v[16:17], off offset:1728
	;; [unrolled: 1-line block ×3, first 2 shown]
	s_wait_loadcnt 0x2
	v_mul_f32_e32 v20, v31, v9
	s_wait_loadcnt 0x1
	v_dual_mul_f32 v9, v5, v9 :: v_dual_mul_f32 v24, v36, v15
	v_dual_mul_f32 v22, v39, v13 :: v_dual_mul_f32 v15, v6, v15
	s_wait_loadcnt 0x0
	v_dual_mul_f32 v13, v23, v13 :: v_dual_mul_f32 v26, v2, v19
	v_mul_f32_e32 v19, v0, v19
	v_fmac_f32_e32 v9, v31, v8
	v_fma_f32 v6, v6, v14, -v24
	s_delay_alu instid0(VALU_DEP_4)
	v_fmac_f32_e32 v13, v39, v12
	v_fma_f32 v0, v0, v18, -v26
	v_mul_f32_e32 v21, v3, v11
	v_mul_f32_e32 v11, v1, v11
	v_fmac_f32_e32 v19, v2, v18
	v_fma_f32 v5, v5, v8, -v20
	s_delay_alu instid0(VALU_DEP_2) | instskip(SKIP_4) | instid1(VALU_DEP_4)
	v_dual_fmac_f32 v11, v3, v10 :: v_dual_add_f32 v8, v9, v19
	v_mul_f32_e32 v25, v37, v17
	v_fmac_f32_e32 v15, v36, v14
	v_mul_f32_e32 v17, v7, v17
	v_fma_f32 v3, v23, v12, -v22
	v_fma_f32 v2, v7, v16, -v25
	s_delay_alu instid0(VALU_DEP_4) | instskip(NEXT) | instid1(VALU_DEP_4)
	v_add_f32_e32 v12, v13, v15
	v_fmac_f32_e32 v17, v37, v16
	v_add_f32_e32 v7, v5, v0
	v_sub_f32_e32 v0, v5, v0
	v_fma_f32 v1, v1, v10, -v21
	s_delay_alu instid0(VALU_DEP_4) | instskip(NEXT) | instid1(VALU_DEP_1)
	v_add_f32_e32 v10, v11, v17
	v_add_f32_e32 v14, v10, v8
	v_sub_f32_e32 v16, v10, v8
	v_sub_f32_e32 v8, v8, v12
	v_dual_sub_f32 v10, v12, v10 :: v_dual_sub_f32 v5, v9, v19
	v_add_f32_e32 v9, v1, v2
	s_delay_alu instid0(VALU_DEP_3) | instskip(SKIP_3) | instid1(VALU_DEP_4)
	v_dual_sub_f32 v1, v1, v2 :: v_dual_mul_f32 v8, 0x3f4a47b2, v8
	v_sub_f32_e32 v2, v11, v17
	v_add_f32_e32 v11, v3, v6
	v_dual_sub_f32 v3, v6, v3 :: v_dual_sub_f32 v6, v15, v13
	v_dual_sub_f32 v21, v1, v0 :: v_dual_add_f32 v12, v12, v14
	s_delay_alu instid0(VALU_DEP_2) | instskip(SKIP_1) | instid1(VALU_DEP_4)
	v_add_f32_e32 v18, v6, v2
	v_sub_f32_e32 v20, v6, v2
	v_dual_sub_f32 v6, v5, v6 :: v_dual_sub_f32 v19, v3, v1
	v_dual_sub_f32 v2, v2, v5 :: v_dual_add_f32 v13, v9, v7
	v_sub_f32_e32 v15, v9, v7
	v_sub_f32_e32 v9, v11, v9
	s_delay_alu instid0(VALU_DEP_4) | instskip(SKIP_2) | instid1(VALU_DEP_4)
	v_dual_add_f32 v5, v18, v5 :: v_dual_mul_f32 v18, 0xbf08b237, v19
	v_mul_f32_e32 v19, 0xbf08b237, v20
	v_mul_f32_e32 v22, 0x3f5ff5aa, v2
	v_dual_mul_f32 v14, 0x3d64c772, v9 :: v_dual_sub_f32 v7, v7, v11
	v_add_f32_e32 v11, v11, v13
	v_add_f32_e32 v17, v3, v1
	v_dual_sub_f32 v3, v0, v3 :: v_dual_mul_f32 v20, 0x3f5ff5aa, v21
	s_delay_alu instid0(VALU_DEP_4) | instskip(NEXT) | instid1(VALU_DEP_3)
	v_mul_f32_e32 v7, 0x3f4a47b2, v7
	v_add_f32_e32 v13, v17, v0
	v_dual_mul_f32 v17, 0x3d64c772, v10 :: v_dual_add_f32 v0, v4, v11
	s_delay_alu instid0(VALU_DEP_3) | instskip(SKIP_1) | instid1(VALU_DEP_3)
	v_dual_fmamk_f32 v4, v9, 0x3d64c772, v7 :: v_dual_fmamk_f32 v9, v10, 0x3d64c772, v8
	v_fma_f32 v10, 0x3f3bfb3b, v15, -v14
	v_fma_f32 v14, 0x3f3bfb3b, v16, -v17
	;; [unrolled: 1-line block ×4, first 2 shown]
	v_dual_fmamk_f32 v16, v6, 0x3eae86e6, v19 :: v_dual_fmamk_f32 v15, v3, 0x3eae86e6, v18
	v_fma_f32 v17, 0x3f5ff5aa, v21, -v18
	v_fma_f32 v18, 0x3f5ff5aa, v2, -v19
	v_add_f32_e32 v1, v30, v12
	v_fma_f32 v19, 0xbeae86e6, v3, -v20
	v_fmamk_f32 v2, v11, 0xbf955555, v0
	v_fma_f32 v20, 0xbeae86e6, v6, -v22
	v_fmac_f32_e32 v16, 0x3ee1c552, v5
	v_fmamk_f32 v3, v12, 0xbf955555, v1
	v_fmac_f32_e32 v15, 0x3ee1c552, v13
	v_fmac_f32_e32 v17, 0x3ee1c552, v13
	v_dual_fmac_f32 v19, 0x3ee1c552, v13 :: v_dual_add_f32 v12, v4, v2
	s_delay_alu instid0(VALU_DEP_4)
	v_add_f32_e32 v13, v9, v3
	v_add_f32_e32 v9, v10, v2
	;; [unrolled: 1-line block ×3, first 2 shown]
	v_fmac_f32_e32 v18, 0x3ee1c552, v5
	v_dual_fmac_f32 v20, 0x3ee1c552, v5 :: v_dual_add_f32 v11, v8, v3
	v_add_f32_e32 v2, v16, v12
	v_sub_f32_e32 v12, v12, v16
	s_delay_alu instid0(VALU_DEP_4) | instskip(SKIP_4) | instid1(VALU_DEP_4)
	v_add_f32_e32 v8, v18, v9
	v_add_f32_e32 v14, v14, v3
	;; [unrolled: 1-line block ×3, first 2 shown]
	v_dual_sub_f32 v10, v10, v20 :: v_dual_sub_f32 v3, v13, v15
	v_dual_sub_f32 v5, v11, v19 :: v_dual_sub_f32 v6, v9, v18
	v_add_f32_e32 v7, v17, v14
	v_sub_f32_e32 v9, v14, v17
	v_add_f32_e32 v11, v19, v11
	v_add_f32_e32 v13, v15, v13
	s_clause 0x6
	global_store_b64 v[33:34], v[0:1], off offset:1512
	global_store_b64 v[33:34], v[2:3], off offset:3240
	;; [unrolled: 1-line block ×7, first 2 shown]
.LBB0_18:
	s_nop 0
	s_sendmsg sendmsg(MSG_DEALLOC_VGPRS)
	s_endpgm
	.section	.rodata,"a",@progbits
	.p2align	6, 0x0
	.amdhsa_kernel fft_rtc_fwd_len1512_factors_2_2_2_3_3_3_7_wgs_63_tpt_63_halfLds_sp_ip_CI_unitstride_sbrr_dirReg
		.amdhsa_group_segment_fixed_size 0
		.amdhsa_private_segment_fixed_size 0
		.amdhsa_kernarg_size 88
		.amdhsa_user_sgpr_count 2
		.amdhsa_user_sgpr_dispatch_ptr 0
		.amdhsa_user_sgpr_queue_ptr 0
		.amdhsa_user_sgpr_kernarg_segment_ptr 1
		.amdhsa_user_sgpr_dispatch_id 0
		.amdhsa_user_sgpr_private_segment_size 0
		.amdhsa_wavefront_size32 1
		.amdhsa_uses_dynamic_stack 0
		.amdhsa_enable_private_segment 0
		.amdhsa_system_sgpr_workgroup_id_x 1
		.amdhsa_system_sgpr_workgroup_id_y 0
		.amdhsa_system_sgpr_workgroup_id_z 0
		.amdhsa_system_sgpr_workgroup_info 0
		.amdhsa_system_vgpr_workitem_id 0
		.amdhsa_next_free_vgpr 123
		.amdhsa_next_free_sgpr 32
		.amdhsa_reserve_vcc 1
		.amdhsa_float_round_mode_32 0
		.amdhsa_float_round_mode_16_64 0
		.amdhsa_float_denorm_mode_32 3
		.amdhsa_float_denorm_mode_16_64 3
		.amdhsa_fp16_overflow 0
		.amdhsa_workgroup_processor_mode 1
		.amdhsa_memory_ordered 1
		.amdhsa_forward_progress 0
		.amdhsa_round_robin_scheduling 0
		.amdhsa_exception_fp_ieee_invalid_op 0
		.amdhsa_exception_fp_denorm_src 0
		.amdhsa_exception_fp_ieee_div_zero 0
		.amdhsa_exception_fp_ieee_overflow 0
		.amdhsa_exception_fp_ieee_underflow 0
		.amdhsa_exception_fp_ieee_inexact 0
		.amdhsa_exception_int_div_zero 0
	.end_amdhsa_kernel
	.text
.Lfunc_end0:
	.size	fft_rtc_fwd_len1512_factors_2_2_2_3_3_3_7_wgs_63_tpt_63_halfLds_sp_ip_CI_unitstride_sbrr_dirReg, .Lfunc_end0-fft_rtc_fwd_len1512_factors_2_2_2_3_3_3_7_wgs_63_tpt_63_halfLds_sp_ip_CI_unitstride_sbrr_dirReg
                                        ; -- End function
	.section	.AMDGPU.csdata,"",@progbits
; Kernel info:
; codeLenInByte = 15628
; NumSgprs: 34
; NumVgprs: 123
; ScratchSize: 0
; MemoryBound: 0
; FloatMode: 240
; IeeeMode: 1
; LDSByteSize: 0 bytes/workgroup (compile time only)
; SGPRBlocks: 4
; VGPRBlocks: 15
; NumSGPRsForWavesPerEU: 34
; NumVGPRsForWavesPerEU: 123
; Occupancy: 10
; WaveLimiterHint : 1
; COMPUTE_PGM_RSRC2:SCRATCH_EN: 0
; COMPUTE_PGM_RSRC2:USER_SGPR: 2
; COMPUTE_PGM_RSRC2:TRAP_HANDLER: 0
; COMPUTE_PGM_RSRC2:TGID_X_EN: 1
; COMPUTE_PGM_RSRC2:TGID_Y_EN: 0
; COMPUTE_PGM_RSRC2:TGID_Z_EN: 0
; COMPUTE_PGM_RSRC2:TIDIG_COMP_CNT: 0
	.text
	.p2alignl 7, 3214868480
	.fill 96, 4, 3214868480
	.type	__hip_cuid_bcc38ae395b97590,@object ; @__hip_cuid_bcc38ae395b97590
	.section	.bss,"aw",@nobits
	.globl	__hip_cuid_bcc38ae395b97590
__hip_cuid_bcc38ae395b97590:
	.byte	0                               ; 0x0
	.size	__hip_cuid_bcc38ae395b97590, 1

	.ident	"AMD clang version 19.0.0git (https://github.com/RadeonOpenCompute/llvm-project roc-6.4.0 25133 c7fe45cf4b819c5991fe208aaa96edf142730f1d)"
	.section	".note.GNU-stack","",@progbits
	.addrsig
	.addrsig_sym __hip_cuid_bcc38ae395b97590
	.amdgpu_metadata
---
amdhsa.kernels:
  - .args:
      - .actual_access:  read_only
        .address_space:  global
        .offset:         0
        .size:           8
        .value_kind:     global_buffer
      - .offset:         8
        .size:           8
        .value_kind:     by_value
      - .actual_access:  read_only
        .address_space:  global
        .offset:         16
        .size:           8
        .value_kind:     global_buffer
      - .actual_access:  read_only
        .address_space:  global
        .offset:         24
        .size:           8
        .value_kind:     global_buffer
      - .offset:         32
        .size:           8
        .value_kind:     by_value
      - .actual_access:  read_only
        .address_space:  global
        .offset:         40
        .size:           8
        .value_kind:     global_buffer
      - .actual_access:  read_only
        .address_space:  global
        .offset:         48
        .size:           8
        .value_kind:     global_buffer
      - .offset:         56
        .size:           4
        .value_kind:     by_value
      - .actual_access:  read_only
        .address_space:  global
        .offset:         64
        .size:           8
        .value_kind:     global_buffer
      - .actual_access:  read_only
        .address_space:  global
        .offset:         72
        .size:           8
        .value_kind:     global_buffer
      - .address_space:  global
        .offset:         80
        .size:           8
        .value_kind:     global_buffer
    .group_segment_fixed_size: 0
    .kernarg_segment_align: 8
    .kernarg_segment_size: 88
    .language:       OpenCL C
    .language_version:
      - 2
      - 0
    .max_flat_workgroup_size: 63
    .name:           fft_rtc_fwd_len1512_factors_2_2_2_3_3_3_7_wgs_63_tpt_63_halfLds_sp_ip_CI_unitstride_sbrr_dirReg
    .private_segment_fixed_size: 0
    .sgpr_count:     34
    .sgpr_spill_count: 0
    .symbol:         fft_rtc_fwd_len1512_factors_2_2_2_3_3_3_7_wgs_63_tpt_63_halfLds_sp_ip_CI_unitstride_sbrr_dirReg.kd
    .uniform_work_group_size: 1
    .uses_dynamic_stack: false
    .vgpr_count:     123
    .vgpr_spill_count: 0
    .wavefront_size: 32
    .workgroup_processor_mode: 1
amdhsa.target:   amdgcn-amd-amdhsa--gfx1201
amdhsa.version:
  - 1
  - 2
...

	.end_amdgpu_metadata
